;; amdgpu-corpus repo=ROCm/rocFFT kind=compiled arch=gfx906 opt=O3
	.text
	.amdgcn_target "amdgcn-amd-amdhsa--gfx906"
	.amdhsa_code_object_version 6
	.protected	fft_rtc_back_len2028_factors_13_4_3_13_wgs_156_tpt_156_dp_ip_CI_unitstride_sbrr_R2C_dirReg ; -- Begin function fft_rtc_back_len2028_factors_13_4_3_13_wgs_156_tpt_156_dp_ip_CI_unitstride_sbrr_R2C_dirReg
	.globl	fft_rtc_back_len2028_factors_13_4_3_13_wgs_156_tpt_156_dp_ip_CI_unitstride_sbrr_R2C_dirReg
	.p2align	8
	.type	fft_rtc_back_len2028_factors_13_4_3_13_wgs_156_tpt_156_dp_ip_CI_unitstride_sbrr_R2C_dirReg,@function
fft_rtc_back_len2028_factors_13_4_3_13_wgs_156_tpt_156_dp_ip_CI_unitstride_sbrr_R2C_dirReg: ; @fft_rtc_back_len2028_factors_13_4_3_13_wgs_156_tpt_156_dp_ip_CI_unitstride_sbrr_R2C_dirReg
; %bb.0:
	s_load_dwordx2 s[2:3], s[4:5], 0x50
	s_load_dwordx4 s[8:11], s[4:5], 0x0
	s_load_dwordx2 s[12:13], s[4:5], 0x18
	v_mul_u32_u24_e32 v1, 0x1a5, v0
	v_add_u32_sdwa v5, s6, v1 dst_sel:DWORD dst_unused:UNUSED_PAD src0_sel:DWORD src1_sel:WORD_1
	v_mov_b32_e32 v3, 0
	s_waitcnt lgkmcnt(0)
	v_cmp_lt_u64_e64 s[0:1], s[10:11], 2
	v_mov_b32_e32 v1, 0
	v_mov_b32_e32 v6, v3
	s_and_b64 vcc, exec, s[0:1]
	v_mov_b32_e32 v2, 0
	s_cbranch_vccnz .LBB0_8
; %bb.1:
	s_load_dwordx2 s[0:1], s[4:5], 0x10
	s_add_u32 s6, s12, 8
	s_addc_u32 s7, s13, 0
	v_mov_b32_e32 v1, 0
	v_mov_b32_e32 v2, 0
	s_waitcnt lgkmcnt(0)
	s_add_u32 s14, s0, 8
	s_addc_u32 s15, s1, 0
	s_mov_b64 s[16:17], 1
.LBB0_2:                                ; =>This Inner Loop Header: Depth=1
	s_load_dwordx2 s[18:19], s[14:15], 0x0
                                        ; implicit-def: $vgpr7_vgpr8
	s_waitcnt lgkmcnt(0)
	v_or_b32_e32 v4, s19, v6
	v_cmp_ne_u64_e32 vcc, 0, v[3:4]
	s_and_saveexec_b64 s[0:1], vcc
	s_xor_b64 s[20:21], exec, s[0:1]
	s_cbranch_execz .LBB0_4
; %bb.3:                                ;   in Loop: Header=BB0_2 Depth=1
	v_cvt_f32_u32_e32 v4, s18
	v_cvt_f32_u32_e32 v7, s19
	s_sub_u32 s0, 0, s18
	s_subb_u32 s1, 0, s19
	v_mac_f32_e32 v4, 0x4f800000, v7
	v_rcp_f32_e32 v4, v4
	v_mul_f32_e32 v4, 0x5f7ffffc, v4
	v_mul_f32_e32 v7, 0x2f800000, v4
	v_trunc_f32_e32 v7, v7
	v_mac_f32_e32 v4, 0xcf800000, v7
	v_cvt_u32_f32_e32 v7, v7
	v_cvt_u32_f32_e32 v4, v4
	v_mul_lo_u32 v8, s0, v7
	v_mul_hi_u32 v9, s0, v4
	v_mul_lo_u32 v11, s1, v4
	v_mul_lo_u32 v10, s0, v4
	v_add_u32_e32 v8, v9, v8
	v_add_u32_e32 v8, v8, v11
	v_mul_hi_u32 v9, v4, v10
	v_mul_lo_u32 v11, v4, v8
	v_mul_hi_u32 v13, v4, v8
	v_mul_hi_u32 v12, v7, v10
	v_mul_lo_u32 v10, v7, v10
	v_mul_hi_u32 v14, v7, v8
	v_add_co_u32_e32 v9, vcc, v9, v11
	v_addc_co_u32_e32 v11, vcc, 0, v13, vcc
	v_mul_lo_u32 v8, v7, v8
	v_add_co_u32_e32 v9, vcc, v9, v10
	v_addc_co_u32_e32 v9, vcc, v11, v12, vcc
	v_addc_co_u32_e32 v10, vcc, 0, v14, vcc
	v_add_co_u32_e32 v8, vcc, v9, v8
	v_addc_co_u32_e32 v9, vcc, 0, v10, vcc
	v_add_co_u32_e32 v4, vcc, v4, v8
	v_addc_co_u32_e32 v7, vcc, v7, v9, vcc
	v_mul_lo_u32 v8, s0, v7
	v_mul_hi_u32 v9, s0, v4
	v_mul_lo_u32 v10, s1, v4
	v_mul_lo_u32 v11, s0, v4
	v_add_u32_e32 v8, v9, v8
	v_add_u32_e32 v8, v8, v10
	v_mul_lo_u32 v12, v4, v8
	v_mul_hi_u32 v13, v4, v11
	v_mul_hi_u32 v14, v4, v8
	;; [unrolled: 1-line block ×3, first 2 shown]
	v_mul_lo_u32 v11, v7, v11
	v_mul_hi_u32 v9, v7, v8
	v_add_co_u32_e32 v12, vcc, v13, v12
	v_addc_co_u32_e32 v13, vcc, 0, v14, vcc
	v_mul_lo_u32 v8, v7, v8
	v_add_co_u32_e32 v11, vcc, v12, v11
	v_addc_co_u32_e32 v10, vcc, v13, v10, vcc
	v_addc_co_u32_e32 v9, vcc, 0, v9, vcc
	v_add_co_u32_e32 v8, vcc, v10, v8
	v_addc_co_u32_e32 v9, vcc, 0, v9, vcc
	v_add_co_u32_e32 v4, vcc, v4, v8
	v_addc_co_u32_e32 v9, vcc, v7, v9, vcc
	v_mad_u64_u32 v[7:8], s[0:1], v5, v9, 0
	v_mul_hi_u32 v10, v5, v4
	v_add_co_u32_e32 v11, vcc, v10, v7
	v_addc_co_u32_e32 v12, vcc, 0, v8, vcc
	v_mad_u64_u32 v[7:8], s[0:1], v6, v4, 0
	v_mad_u64_u32 v[9:10], s[0:1], v6, v9, 0
	v_add_co_u32_e32 v4, vcc, v11, v7
	v_addc_co_u32_e32 v4, vcc, v12, v8, vcc
	v_addc_co_u32_e32 v7, vcc, 0, v10, vcc
	v_add_co_u32_e32 v4, vcc, v4, v9
	v_addc_co_u32_e32 v9, vcc, 0, v7, vcc
	v_mul_lo_u32 v10, s19, v4
	v_mul_lo_u32 v11, s18, v9
	v_mad_u64_u32 v[7:8], s[0:1], s18, v4, 0
	v_add3_u32 v8, v8, v11, v10
	v_sub_u32_e32 v10, v6, v8
	v_mov_b32_e32 v11, s19
	v_sub_co_u32_e32 v7, vcc, v5, v7
	v_subb_co_u32_e64 v10, s[0:1], v10, v11, vcc
	v_subrev_co_u32_e64 v11, s[0:1], s18, v7
	v_subbrev_co_u32_e64 v10, s[0:1], 0, v10, s[0:1]
	v_cmp_le_u32_e64 s[0:1], s19, v10
	v_cndmask_b32_e64 v12, 0, -1, s[0:1]
	v_cmp_le_u32_e64 s[0:1], s18, v11
	v_cndmask_b32_e64 v11, 0, -1, s[0:1]
	v_cmp_eq_u32_e64 s[0:1], s19, v10
	v_cndmask_b32_e64 v10, v12, v11, s[0:1]
	v_add_co_u32_e64 v11, s[0:1], 2, v4
	v_addc_co_u32_e64 v12, s[0:1], 0, v9, s[0:1]
	v_add_co_u32_e64 v13, s[0:1], 1, v4
	v_addc_co_u32_e64 v14, s[0:1], 0, v9, s[0:1]
	v_subb_co_u32_e32 v8, vcc, v6, v8, vcc
	v_cmp_ne_u32_e64 s[0:1], 0, v10
	v_cmp_le_u32_e32 vcc, s19, v8
	v_cndmask_b32_e64 v10, v14, v12, s[0:1]
	v_cndmask_b32_e64 v12, 0, -1, vcc
	v_cmp_le_u32_e32 vcc, s18, v7
	v_cndmask_b32_e64 v7, 0, -1, vcc
	v_cmp_eq_u32_e32 vcc, s19, v8
	v_cndmask_b32_e32 v7, v12, v7, vcc
	v_cmp_ne_u32_e32 vcc, 0, v7
	v_cndmask_b32_e64 v7, v13, v11, s[0:1]
	v_cndmask_b32_e32 v8, v9, v10, vcc
	v_cndmask_b32_e32 v7, v4, v7, vcc
.LBB0_4:                                ;   in Loop: Header=BB0_2 Depth=1
	s_andn2_saveexec_b64 s[0:1], s[20:21]
	s_cbranch_execz .LBB0_6
; %bb.5:                                ;   in Loop: Header=BB0_2 Depth=1
	v_cvt_f32_u32_e32 v4, s18
	s_sub_i32 s20, 0, s18
	v_rcp_iflag_f32_e32 v4, v4
	v_mul_f32_e32 v4, 0x4f7ffffe, v4
	v_cvt_u32_f32_e32 v4, v4
	v_mul_lo_u32 v7, s20, v4
	v_mul_hi_u32 v7, v4, v7
	v_add_u32_e32 v4, v4, v7
	v_mul_hi_u32 v4, v5, v4
	v_mul_lo_u32 v7, v4, s18
	v_add_u32_e32 v8, 1, v4
	v_sub_u32_e32 v7, v5, v7
	v_subrev_u32_e32 v9, s18, v7
	v_cmp_le_u32_e32 vcc, s18, v7
	v_cndmask_b32_e32 v7, v7, v9, vcc
	v_cndmask_b32_e32 v4, v4, v8, vcc
	v_add_u32_e32 v8, 1, v4
	v_cmp_le_u32_e32 vcc, s18, v7
	v_cndmask_b32_e32 v7, v4, v8, vcc
	v_mov_b32_e32 v8, v3
.LBB0_6:                                ;   in Loop: Header=BB0_2 Depth=1
	s_or_b64 exec, exec, s[0:1]
	v_mul_lo_u32 v4, v8, s18
	v_mul_lo_u32 v11, v7, s19
	v_mad_u64_u32 v[9:10], s[0:1], v7, s18, 0
	s_load_dwordx2 s[0:1], s[6:7], 0x0
	s_add_u32 s16, s16, 1
	v_add3_u32 v4, v10, v11, v4
	v_sub_co_u32_e32 v5, vcc, v5, v9
	v_subb_co_u32_e32 v4, vcc, v6, v4, vcc
	s_waitcnt lgkmcnt(0)
	v_mul_lo_u32 v4, s0, v4
	v_mul_lo_u32 v6, s1, v5
	v_mad_u64_u32 v[1:2], s[0:1], s0, v5, v[1:2]
	s_addc_u32 s17, s17, 0
	s_add_u32 s6, s6, 8
	v_add3_u32 v2, v6, v2, v4
	v_mov_b32_e32 v4, s10
	v_mov_b32_e32 v5, s11
	s_addc_u32 s7, s7, 0
	v_cmp_ge_u64_e32 vcc, s[16:17], v[4:5]
	s_add_u32 s14, s14, 8
	s_addc_u32 s15, s15, 0
	s_cbranch_vccnz .LBB0_9
; %bb.7:                                ;   in Loop: Header=BB0_2 Depth=1
	v_mov_b32_e32 v5, v7
	v_mov_b32_e32 v6, v8
	s_branch .LBB0_2
.LBB0_8:
	v_mov_b32_e32 v8, v6
	v_mov_b32_e32 v7, v5
.LBB0_9:
	s_lshl_b64 s[0:1], s[10:11], 3
	s_add_u32 s0, s12, s0
	s_addc_u32 s1, s13, s1
	s_load_dwordx2 s[6:7], s[0:1], 0x0
	s_load_dwordx2 s[10:11], s[4:5], 0x20
                                        ; implicit-def: $vgpr68
                                        ; implicit-def: $vgpr71
                                        ; implicit-def: $vgpr70
	s_waitcnt lgkmcnt(0)
	v_mad_u64_u32 v[1:2], s[0:1], s6, v7, v[1:2]
	s_mov_b32 s0, 0x1a41a42
	v_mul_lo_u32 v3, s6, v8
	v_mul_lo_u32 v4, s7, v7
	v_mul_hi_u32 v5, v0, s0
	v_cmp_gt_u64_e64 s[0:1], s[10:11], v[7:8]
	v_cmp_le_u64_e32 vcc, s[10:11], v[7:8]
	v_add3_u32 v2, v4, v2, v3
	v_mul_u32_u24_e32 v3, 0x9c, v5
	v_sub_u32_e32 v64, v0, v3
	s_and_saveexec_b64 s[4:5], vcc
	s_xor_b64 s[4:5], exec, s[4:5]
; %bb.10:
	v_add_u32_e32 v68, 0x9c, v64
	v_add_u32_e32 v71, 0x138, v64
	;; [unrolled: 1-line block ×3, first 2 shown]
; %bb.11:
	s_or_saveexec_b64 s[4:5], s[4:5]
	v_lshlrev_b64 v[66:67], 4, v[1:2]
	v_lshl_add_u32 v73, v64, 4, 0
	s_xor_b64 exec, exec, s[4:5]
	s_cbranch_execz .LBB0_13
; %bb.12:
	v_mov_b32_e32 v65, 0
	v_mov_b32_e32 v0, s3
	v_add_co_u32_e32 v2, vcc, s2, v66
	v_addc_co_u32_e32 v3, vcc, v0, v67, vcc
	v_lshlrev_b64 v[0:1], 4, v[64:65]
	s_movk_i32 s6, 0x1000
	v_add_co_u32_e32 v40, vcc, v2, v0
	v_addc_co_u32_e32 v41, vcc, v3, v1, vcc
	v_add_co_u32_e32 v16, vcc, s6, v40
	v_addc_co_u32_e32 v17, vcc, 0, v41, vcc
	s_movk_i32 s6, 0x2000
	v_add_co_u32_e32 v24, vcc, s6, v40
	s_movk_i32 s7, 0x3000
	v_addc_co_u32_e32 v25, vcc, 0, v41, vcc
	v_add_co_u32_e32 v32, vcc, s7, v40
	v_addc_co_u32_e32 v33, vcc, 0, v41, vcc
	s_movk_i32 s6, 0x4000
	v_add_co_u32_e32 v42, vcc, s6, v40
	v_addc_co_u32_e32 v43, vcc, 0, v41, vcc
	s_movk_i32 s6, 0x5000
	v_add_co_u32_e32 v44, vcc, s6, v40
	v_addc_co_u32_e32 v45, vcc, 0, v41, vcc
	v_add_co_u32_e32 v52, vcc, 0x6000, v40
	v_addc_co_u32_e32 v53, vcc, 0, v41, vcc
	v_add_co_u32_e32 v54, vcc, 0x7000, v40
	global_load_dwordx4 v[0:3], v[40:41], off
	global_load_dwordx4 v[4:7], v[40:41], off offset:2496
	global_load_dwordx4 v[8:11], v[16:17], off offset:896
	;; [unrolled: 1-line block ×3, first 2 shown]
	s_nop 0
	global_load_dwordx4 v[16:19], v[24:25], off offset:1792
	global_load_dwordx4 v[20:23], v[32:33], off offset:192
	s_nop 0
	global_load_dwordx4 v[24:27], v[32:33], off offset:2688
	global_load_dwordx4 v[28:31], v[42:43], off offset:1088
	;; [unrolled: 3-line block ×3, first 2 shown]
	v_addc_co_u32_e32 v55, vcc, 0, v41, vcc
	global_load_dwordx4 v[40:43], v[52:53], off offset:384
	global_load_dwordx4 v[44:47], v[52:53], off offset:2880
	;; [unrolled: 1-line block ×3, first 2 shown]
	v_add_u32_e32 v68, 0x9c, v64
	v_add_u32_e32 v71, 0x138, v64
	;; [unrolled: 1-line block ×3, first 2 shown]
	s_waitcnt vmcnt(12)
	ds_write_b128 v73, v[0:3]
	s_waitcnt vmcnt(11)
	ds_write_b128 v73, v[4:7] offset:2496
	s_waitcnt vmcnt(10)
	ds_write_b128 v73, v[8:11] offset:4992
	;; [unrolled: 2-line block ×12, first 2 shown]
.LBB0_13:
	s_or_b64 exec, exec, s[4:5]
	s_waitcnt lgkmcnt(0)
	s_barrier
	ds_read_b128 v[0:3], v73
	ds_read_b128 v[4:7], v73 offset:2496
	ds_read_b128 v[8:11], v73 offset:4992
	;; [unrolled: 1-line block ×5, first 2 shown]
	s_mov_b32 s20, 0x4267c47c
	s_mov_b32 s21, 0xbfddbe06
	;; [unrolled: 1-line block ×3, first 2 shown]
	s_waitcnt lgkmcnt(4)
	v_add_f64 v[24:25], v[0:1], v[4:5]
	v_add_f64 v[26:27], v[2:3], v[6:7]
	s_mov_b32 s14, 0x42a4c3d2
	s_mov_b32 s4, 0x66966769
	;; [unrolled: 1-line block ×6, first 2 shown]
	s_waitcnt lgkmcnt(3)
	v_add_f64 v[32:33], v[24:25], v[8:9]
	v_add_f64 v[34:35], v[26:27], v[10:11]
	ds_read_b128 v[28:31], v73 offset:14976
	ds_read_b128 v[24:27], v73 offset:17472
	;; [unrolled: 1-line block ×7, first 2 shown]
	s_mov_b32 s15, 0xbfea55e2
	s_mov_b32 s5, 0xbfefc445
	;; [unrolled: 1-line block ×4, first 2 shown]
	s_waitcnt lgkmcnt(0)
	v_add_f64 v[78:79], v[6:7], -v[62:63]
	v_add_f64 v[32:33], v[32:33], v[12:13]
	v_add_f64 v[34:35], v[34:35], v[14:15]
	s_mov_b32 s43, 0xbfcea1e5
	s_mov_b32 s16, 0x1ea71119
	;; [unrolled: 1-line block ×5, first 2 shown]
	v_mul_f64 v[80:81], v[78:79], s[10:11]
	v_add_f64 v[32:33], v[32:33], v[16:17]
	v_add_f64 v[34:35], v[34:35], v[18:19]
	s_mov_b32 s28, 0x93053d00
	s_mov_b32 s17, 0x3fe22d96
	s_mov_b32 s7, 0x3fbedb7d
	s_mov_b32 s19, 0xbfd6b1d8
	s_mov_b32 s35, 0xbfe7f3cc
	s_mov_b32 s29, 0xbfef11f4
	v_add_f64 v[32:33], v[32:33], v[20:21]
	v_add_f64 v[34:35], v[34:35], v[22:23]
	s_mov_b32 s27, 0x3fddbe06
	s_mov_b32 s26, s20
	;; [unrolled: 1-line block ×6, first 2 shown]
	v_add_f64 v[36:37], v[32:33], v[28:29]
	v_add_f64 v[38:39], v[34:35], v[30:31]
	;; [unrolled: 1-line block ×3, first 2 shown]
	v_add_f64 v[28:29], v[28:29], -v[24:25]
	v_add_f64 v[34:35], v[30:31], v[26:27]
	v_add_f64 v[30:31], v[30:31], -v[26:27]
	s_mov_b32 s31, 0x3fedeba7
	s_mov_b32 s30, s10
	v_add_f64 v[48:49], v[36:37], v[24:25]
	v_add_f64 v[50:51], v[38:39], v[26:27]
	;; [unrolled: 1-line block ×3, first 2 shown]
	v_add_f64 v[20:21], v[20:21], -v[40:41]
	v_add_f64 v[26:27], v[22:23], v[42:43]
	v_add_f64 v[22:23], v[22:23], -v[42:43]
	v_add_f64 v[36:37], v[16:17], v[44:45]
	v_add_f64 v[38:39], v[18:19], v[46:47]
	;; [unrolled: 1-line block ×5, first 2 shown]
	v_add_f64 v[12:13], v[12:13], -v[52:53]
	v_add_f64 v[16:17], v[16:17], -v[44:45]
	v_add_f64 v[18:19], v[18:19], -v[46:47]
	v_add_f64 v[42:43], v[14:15], v[54:55]
	v_add_f64 v[14:15], v[14:15], -v[54:55]
	v_add_f64 v[74:75], v[48:49], v[44:45]
	v_add_f64 v[76:77], v[50:51], v[46:47]
	;; [unrolled: 1-line block ×3, first 2 shown]
	v_add_f64 v[50:51], v[10:11], -v[58:59]
	v_add_f64 v[44:45], v[8:9], v[56:57]
	v_add_f64 v[46:47], v[8:9], -v[56:57]
	v_add_f64 v[8:9], v[4:5], v[60:61]
	s_mov_b32 s41, 0x3fe5384d
	v_add_f64 v[10:11], v[74:75], v[52:53]
	v_add_f64 v[52:53], v[76:77], v[54:55]
	;; [unrolled: 1-line block ×3, first 2 shown]
	v_mul_f64 v[6:7], v[78:79], s[20:21]
	v_add_f64 v[74:75], v[4:5], -v[60:61]
	v_mul_f64 v[4:5], v[78:79], s[14:15]
	v_mul_f64 v[76:77], v[78:79], s[4:5]
	s_mov_b32 s40, s22
	v_add_f64 v[10:11], v[10:11], v[56:57]
	v_add_f64 v[52:53], v[52:53], v[58:59]
	v_mul_f64 v[56:57], v[78:79], s[22:23]
	v_fma_f64 v[58:59], v[8:9], s[12:13], v[6:7]
	v_fma_f64 v[82:83], v[8:9], s[12:13], -v[6:7]
	v_fma_f64 v[84:85], v[8:9], s[16:17], v[4:5]
	v_fma_f64 v[86:87], v[8:9], s[16:17], -v[4:5]
	v_fma_f64 v[88:89], v[8:9], s[6:7], v[76:77]
	v_add_f64 v[4:5], v[10:11], v[60:61]
	v_add_f64 v[6:7], v[52:53], v[62:63]
	v_mul_f64 v[52:53], v[78:79], s[42:43]
	v_fma_f64 v[10:11], v[8:9], s[6:7], -v[76:77]
	v_fma_f64 v[60:61], v[8:9], s[18:19], v[80:81]
	v_fma_f64 v[62:63], v[8:9], s[18:19], -v[80:81]
	v_fma_f64 v[76:77], v[8:9], s[34:35], v[56:57]
	v_fma_f64 v[56:57], v[8:9], s[34:35], -v[56:57]
	v_mul_f64 v[78:79], v[54:55], s[12:13]
	v_mul_f64 v[92:93], v[54:55], s[6:7]
	v_fma_f64 v[80:81], v[8:9], s[28:29], v[52:53]
	v_fma_f64 v[8:9], v[8:9], s[28:29], -v[52:53]
	v_mul_f64 v[52:53], v[54:55], s[16:17]
	v_mul_f64 v[96:97], v[54:55], s[18:19]
	;; [unrolled: 1-line block ×4, first 2 shown]
	v_fma_f64 v[90:91], v[74:75], s[26:27], v[78:79]
	s_mov_b32 s39, 0x3fcea1e5
	s_mov_b32 s38, s42
	v_fma_f64 v[78:79], v[74:75], s[20:21], v[78:79]
	v_fma_f64 v[94:95], v[74:75], s[36:37], v[52:53]
	v_fma_f64 v[52:53], v[74:75], s[14:15], v[52:53]
	v_fma_f64 v[98:99], v[74:75], s[24:25], v[92:93]
	v_fma_f64 v[92:93], v[74:75], s[4:5], v[92:93]
	v_fma_f64 v[102:103], v[74:75], s[30:31], v[96:97]
	v_fma_f64 v[96:97], v[74:75], s[10:11], v[96:97]
	v_fma_f64 v[104:105], v[74:75], s[40:41], v[100:101]
	v_fma_f64 v[100:101], v[74:75], s[22:23], v[100:101]
	v_fma_f64 v[106:107], v[74:75], s[38:39], v[54:55]
	v_fma_f64 v[54:55], v[74:75], s[42:43], v[54:55]
	v_add_f64 v[74:75], v[2:3], v[90:91]
	v_add_f64 v[90:91], v[2:3], v[94:95]
	v_mul_f64 v[94:95], v[50:51], s[14:15]
	v_add_f64 v[108:109], v[0:1], v[10:11]
	v_mul_f64 v[10:11], v[48:49], s[16:17]
	v_add_f64 v[58:59], v[0:1], v[58:59]
	v_add_f64 v[110:111], v[0:1], v[60:61]
	;; [unrolled: 1-line block ×3, first 2 shown]
	v_mul_f64 v[62:63], v[14:15], s[4:5]
	v_add_f64 v[114:115], v[0:1], v[76:77]
	v_fma_f64 v[60:61], v[44:45], s[16:17], v[94:95]
	v_mul_f64 v[116:117], v[42:43], s[6:7]
	v_fma_f64 v[76:77], v[46:47], s[36:37], v[10:11]
	v_add_f64 v[118:119], v[0:1], v[56:57]
	v_add_f64 v[82:83], v[0:1], v[82:83]
	;; [unrolled: 1-line block ×6, first 2 shown]
	v_fma_f64 v[58:59], v[40:41], s[6:7], v[62:63]
	v_mul_f64 v[60:61], v[18:19], s[10:11]
	v_add_f64 v[74:75], v[76:77], v[74:75]
	v_fma_f64 v[76:77], v[12:13], s[24:25], v[116:117]
	v_mul_f64 v[120:121], v[38:39], s[18:19]
	v_add_f64 v[122:123], v[0:1], v[80:81]
	v_add_f64 v[124:125], v[0:1], v[8:9]
	v_fma_f64 v[0:1], v[44:45], s[16:17], -v[94:95]
	v_add_f64 v[56:57], v[58:59], v[56:57]
	v_fma_f64 v[58:59], v[36:37], s[18:19], v[60:61]
	v_add_f64 v[78:79], v[2:3], v[78:79]
	v_add_f64 v[8:9], v[76:77], v[74:75]
	v_mul_f64 v[76:77], v[22:23], s[22:23]
	v_add_f64 v[52:53], v[2:3], v[52:53]
	v_add_f64 v[98:99], v[2:3], v[98:99]
	;; [unrolled: 1-line block ×8, first 2 shown]
	v_fma_f64 v[74:75], v[16:17], s[30:31], v[120:121]
	v_add_f64 v[94:95], v[2:3], v[54:55]
	v_mul_f64 v[2:3], v[26:27], s[34:35]
	v_add_f64 v[54:55], v[58:59], v[56:57]
	v_fma_f64 v[10:11], v[46:47], s[14:15], v[10:11]
	v_add_f64 v[0:1], v[0:1], v[82:83]
	v_fma_f64 v[56:57], v[40:41], s[6:7], -v[62:63]
	v_fma_f64 v[58:59], v[24:25], s[34:35], v[76:77]
	v_mul_f64 v[62:63], v[30:31], s[42:43]
	v_add_f64 v[8:9], v[74:75], v[8:9]
	v_fma_f64 v[74:75], v[20:21], s[40:41], v[2:3]
	v_mul_f64 v[80:81], v[34:35], s[28:29]
	v_add_f64 v[10:11], v[10:11], v[78:79]
	v_fma_f64 v[78:79], v[12:13], s[4:5], v[116:117]
	v_add_f64 v[0:1], v[56:57], v[0:1]
	v_fma_f64 v[56:57], v[36:37], s[18:19], -v[60:61]
	v_add_f64 v[54:55], v[58:59], v[54:55]
	v_fma_f64 v[58:59], v[32:33], s[28:29], v[62:63]
	v_add_f64 v[60:61], v[74:75], v[8:9]
	v_fma_f64 v[74:75], v[28:29], s[38:39], v[80:81]
	v_mul_f64 v[82:83], v[50:51], s[10:11]
	v_add_f64 v[78:79], v[78:79], v[10:11]
	v_fma_f64 v[116:117], v[16:17], s[10:11], v[120:121]
	v_add_f64 v[0:1], v[56:57], v[0:1]
	v_fma_f64 v[56:57], v[24:25], s[34:35], -v[76:77]
	v_add_f64 v[8:9], v[58:59], v[54:55]
	v_mul_f64 v[54:55], v[48:49], s[18:19]
	v_add_f64 v[10:11], v[74:75], v[60:61]
	v_fma_f64 v[58:59], v[44:45], s[18:19], v[82:83]
	v_mul_f64 v[60:61], v[14:15], s[42:43]
	v_add_f64 v[74:75], v[116:117], v[78:79]
	v_fma_f64 v[2:3], v[20:21], s[22:23], v[2:3]
	v_add_f64 v[0:1], v[56:57], v[0:1]
	v_fma_f64 v[56:57], v[32:33], s[28:29], -v[62:63]
	v_fma_f64 v[62:63], v[46:47], s[30:31], v[54:55]
	v_mul_f64 v[76:77], v[42:43], s[28:29]
	v_add_f64 v[58:59], v[58:59], v[84:85]
	v_fma_f64 v[78:79], v[40:41], s[28:29], v[60:61]
	v_mul_f64 v[84:85], v[18:19], s[40:41]
	v_add_f64 v[2:3], v[2:3], v[74:75]
	v_fma_f64 v[74:75], v[28:29], s[42:43], v[80:81]
	v_add_f64 v[0:1], v[56:57], v[0:1]
	v_add_f64 v[56:57], v[62:63], v[90:91]
	v_fma_f64 v[62:63], v[12:13], s[38:39], v[76:77]
	v_mul_f64 v[80:81], v[38:39], s[34:35]
	v_add_f64 v[58:59], v[78:79], v[58:59]
	v_fma_f64 v[78:79], v[36:37], s[34:35], v[84:85]
	v_fma_f64 v[82:83], v[44:45], s[18:19], -v[82:83]
	v_add_f64 v[2:3], v[74:75], v[2:3]
	v_mul_f64 v[74:75], v[22:23], s[24:25]
	v_fma_f64 v[54:55], v[46:47], s[10:11], v[54:55]
	v_add_f64 v[56:57], v[62:63], v[56:57]
	v_fma_f64 v[62:63], v[16:17], s[22:23], v[80:81]
	v_mul_f64 v[90:91], v[26:27], s[6:7]
	v_add_f64 v[58:59], v[78:79], v[58:59]
	v_add_f64 v[78:79], v[82:83], v[86:87]
	v_fma_f64 v[60:61], v[40:41], s[28:29], -v[60:61]
	v_fma_f64 v[82:83], v[24:25], s[6:7], v[74:75]
	v_add_f64 v[52:53], v[54:55], v[52:53]
	v_fma_f64 v[54:55], v[12:13], s[42:43], v[76:77]
	v_add_f64 v[56:57], v[62:63], v[56:57]
	v_fma_f64 v[62:63], v[20:21], s[4:5], v[90:91]
	v_mul_f64 v[76:77], v[30:31], s[26:27]
	v_mul_f64 v[86:87], v[34:35], s[12:13]
	v_add_f64 v[60:61], v[60:61], v[78:79]
	v_fma_f64 v[78:79], v[36:37], s[34:35], -v[84:85]
	v_add_f64 v[58:59], v[82:83], v[58:59]
	v_add_f64 v[52:53], v[54:55], v[52:53]
	v_fma_f64 v[54:55], v[16:17], s[40:41], v[80:81]
	v_add_f64 v[56:57], v[62:63], v[56:57]
	v_fma_f64 v[62:63], v[32:33], s[12:13], v[76:77]
	v_fma_f64 v[80:81], v[28:29], s[20:21], v[86:87]
	v_mul_f64 v[82:83], v[50:51], s[42:43]
	v_add_f64 v[60:61], v[78:79], v[60:61]
	v_fma_f64 v[74:75], v[24:25], s[6:7], -v[74:75]
	v_mul_f64 v[78:79], v[48:49], s[28:29]
	v_add_f64 v[84:85], v[54:55], v[52:53]
	v_fma_f64 v[90:91], v[20:21], s[24:25], v[90:91]
	v_add_f64 v[52:53], v[62:63], v[58:59]
	v_add_f64 v[54:55], v[80:81], v[56:57]
	v_fma_f64 v[56:57], v[44:45], s[28:29], v[82:83]
	v_mul_f64 v[62:63], v[14:15], s[30:31]
	v_add_f64 v[58:59], v[74:75], v[60:61]
	v_fma_f64 v[60:61], v[46:47], s[38:39], v[78:79]
	v_mul_f64 v[74:75], v[42:43], s[18:19]
	v_add_f64 v[80:81], v[90:91], v[84:85]
	v_fma_f64 v[76:77], v[32:33], s[12:13], -v[76:77]
	v_fma_f64 v[84:85], v[28:29], s[26:27], v[86:87]
	v_add_f64 v[86:87], v[56:57], v[88:89]
	v_fma_f64 v[88:89], v[40:41], s[18:19], v[62:63]
	v_mul_f64 v[90:91], v[18:19], s[26:27]
	v_add_f64 v[60:61], v[60:61], v[98:99]
	v_fma_f64 v[98:99], v[12:13], s[10:11], v[74:75]
	v_mul_f64 v[116:117], v[38:39], s[12:13]
	v_add_f64 v[56:57], v[76:77], v[58:59]
	v_add_f64 v[58:59], v[84:85], v[80:81]
	v_fma_f64 v[82:83], v[44:45], s[28:29], -v[82:83]
	v_add_f64 v[76:77], v[88:89], v[86:87]
	v_fma_f64 v[80:81], v[36:37], s[12:13], v[90:91]
	v_mul_f64 v[86:87], v[22:23], s[14:15]
	v_add_f64 v[60:61], v[98:99], v[60:61]
	v_fma_f64 v[84:85], v[16:17], s[20:21], v[116:117]
	v_mul_f64 v[88:89], v[26:27], s[16:17]
	v_fma_f64 v[78:79], v[46:47], s[42:43], v[78:79]
	v_fma_f64 v[62:63], v[40:41], s[18:19], -v[62:63]
	v_mul_f64 v[98:99], v[30:31], s[22:23]
	v_add_f64 v[76:77], v[80:81], v[76:77]
	v_add_f64 v[80:81], v[82:83], v[108:109]
	v_fma_f64 v[82:83], v[24:25], s[16:17], v[86:87]
	v_add_f64 v[60:61], v[84:85], v[60:61]
	v_fma_f64 v[84:85], v[20:21], s[36:37], v[88:89]
	;; [unrolled: 2-line block ×3, first 2 shown]
	v_mul_f64 v[92:93], v[34:35], s[34:35]
	v_fma_f64 v[86:87], v[24:25], s[16:17], -v[86:87]
	v_add_f64 v[62:63], v[62:63], v[80:81]
	v_fma_f64 v[80:81], v[36:37], s[12:13], -v[90:91]
	v_add_f64 v[76:77], v[82:83], v[76:77]
	v_add_f64 v[82:83], v[84:85], v[60:61]
	v_fma_f64 v[60:61], v[32:33], s[34:35], v[98:99]
	v_mul_f64 v[84:85], v[50:51], s[40:41]
	v_add_f64 v[74:75], v[74:75], v[78:79]
	v_fma_f64 v[78:79], v[16:17], s[26:27], v[116:117]
	v_fma_f64 v[90:91], v[28:29], s[40:41], v[92:93]
	v_add_f64 v[80:81], v[80:81], v[62:63]
	v_mul_f64 v[108:109], v[48:49], s[34:35]
	v_mul_f64 v[116:117], v[14:15], s[26:27]
	v_add_f64 v[60:61], v[60:61], v[76:77]
	v_fma_f64 v[76:77], v[44:45], s[34:35], v[84:85]
	v_fma_f64 v[84:85], v[44:45], s[34:35], -v[84:85]
	v_add_f64 v[74:75], v[78:79], v[74:75]
	v_fma_f64 v[78:79], v[20:21], s[14:15], v[88:89]
	v_add_f64 v[62:63], v[90:91], v[82:83]
	v_add_f64 v[80:81], v[86:87], v[80:81]
	v_fma_f64 v[82:83], v[46:47], s[22:23], v[108:109]
	v_mul_f64 v[86:87], v[42:43], s[12:13]
	v_add_f64 v[76:77], v[76:77], v[110:111]
	v_fma_f64 v[88:89], v[40:41], s[12:13], v[116:117]
	v_mul_f64 v[90:91], v[18:19], s[4:5]
	v_add_f64 v[78:79], v[78:79], v[74:75]
	v_fma_f64 v[74:75], v[32:33], s[34:35], -v[98:99]
	v_mul_f64 v[110:111], v[22:23], s[38:39]
	v_add_f64 v[82:83], v[82:83], v[102:103]
	v_fma_f64 v[98:99], v[12:13], s[20:21], v[86:87]
	v_mul_f64 v[102:103], v[38:39], s[6:7]
	v_add_f64 v[76:77], v[88:89], v[76:77]
	v_fma_f64 v[88:89], v[36:37], s[6:7], v[90:91]
	v_add_f64 v[84:85], v[84:85], v[112:113]
	v_add_f64 v[74:75], v[74:75], v[80:81]
	v_fma_f64 v[80:81], v[46:47], s[40:41], v[108:109]
	v_fma_f64 v[92:93], v[28:29], s[22:23], v[92:93]
	v_add_f64 v[82:83], v[98:99], v[82:83]
	v_fma_f64 v[98:99], v[40:41], s[12:13], -v[116:117]
	v_fma_f64 v[108:109], v[16:17], s[24:25], v[102:103]
	v_add_f64 v[88:89], v[88:89], v[76:77]
	v_fma_f64 v[112:113], v[24:25], s[28:29], v[110:111]
	v_mul_f64 v[116:117], v[26:27], s[28:29]
	v_add_f64 v[80:81], v[80:81], v[96:97]
	v_fma_f64 v[86:87], v[12:13], s[26:27], v[86:87]
	v_mul_f64 v[96:97], v[30:31], s[36:37]
	v_add_f64 v[84:85], v[98:99], v[84:85]
	v_fma_f64 v[90:91], v[36:37], s[6:7], -v[90:91]
	v_add_f64 v[76:77], v[92:93], v[78:79]
	v_add_f64 v[78:79], v[108:109], v[82:83]
	;; [unrolled: 1-line block ×3, first 2 shown]
	v_fma_f64 v[88:89], v[20:21], s[42:43], v[116:117]
	v_add_f64 v[80:81], v[86:87], v[80:81]
	v_fma_f64 v[86:87], v[16:17], s[4:5], v[102:103]
	v_fma_f64 v[92:93], v[32:33], s[16:17], v[96:97]
	v_add_f64 v[84:85], v[90:91], v[84:85]
	v_fma_f64 v[90:91], v[24:25], s[28:29], -v[110:111]
	v_mul_f64 v[98:99], v[50:51], s[24:25]
	v_mul_f64 v[102:103], v[48:49], s[6:7]
	;; [unrolled: 1-line block ×3, first 2 shown]
	v_add_f64 v[88:89], v[88:89], v[78:79]
	v_add_f64 v[80:81], v[86:87], v[80:81]
	v_fma_f64 v[86:87], v[20:21], s[38:39], v[116:117]
	v_add_f64 v[78:79], v[92:93], v[82:83]
	v_add_f64 v[82:83], v[90:91], v[84:85]
	v_fma_f64 v[84:85], v[44:45], s[6:7], v[98:99]
	v_fma_f64 v[90:91], v[46:47], s[4:5], v[102:103]
	v_mul_f64 v[92:93], v[14:15], s[14:15]
	v_mul_f64 v[110:111], v[42:43], s[16:17]
	v_fma_f64 v[112:113], v[28:29], s[14:15], v[108:109]
	v_add_f64 v[86:87], v[86:87], v[80:81]
	v_fma_f64 v[108:109], v[28:29], s[36:37], v[108:109]
	v_mul_f64 v[50:51], v[50:51], s[26:27]
	v_add_f64 v[114:115], v[84:85], v[114:115]
	v_add_f64 v[90:91], v[90:91], v[104:105]
	v_fma_f64 v[104:105], v[40:41], s[16:17], v[92:93]
	v_mul_f64 v[48:49], v[48:49], s[12:13]
	v_fma_f64 v[96:97], v[32:33], s[16:17], -v[96:97]
	v_fma_f64 v[116:117], v[12:13], s[36:37], v[110:111]
	v_mul_f64 v[120:121], v[18:19], s[38:39]
	v_add_f64 v[80:81], v[112:113], v[88:89]
	v_mul_f64 v[88:89], v[38:39], s[28:29]
	v_add_f64 v[84:85], v[108:109], v[86:87]
	v_add_f64 v[86:87], v[104:105], v[114:115]
	v_fma_f64 v[98:99], v[44:45], s[6:7], -v[98:99]
	v_fma_f64 v[102:103], v[46:47], s[24:25], v[102:103]
	v_fma_f64 v[114:115], v[44:45], s[12:13], v[50:51]
	v_fma_f64 v[44:45], v[44:45], s[12:13], -v[50:51]
	v_fma_f64 v[50:51], v[46:47], s[20:21], v[48:49]
	v_fma_f64 v[46:47], v[46:47], s[26:27], v[48:49]
	v_mul_f64 v[14:15], v[14:15], s[22:23]
	v_mul_f64 v[42:43], v[42:43], s[34:35]
	v_add_f64 v[82:83], v[96:97], v[82:83]
	v_add_f64 v[90:91], v[116:117], v[90:91]
	v_fma_f64 v[96:97], v[36:37], s[28:29], v[120:121]
	v_mul_f64 v[104:105], v[22:23], s[26:27]
	v_fma_f64 v[108:109], v[16:17], s[42:43], v[88:89]
	v_mul_f64 v[112:113], v[26:27], s[12:13]
	v_add_f64 v[98:99], v[98:99], v[118:119]
	v_add_f64 v[100:101], v[102:103], v[100:101]
	;; [unrolled: 1-line block ×4, first 2 shown]
	v_fma_f64 v[92:93], v[40:41], s[16:17], -v[92:93]
	v_fma_f64 v[106:107], v[12:13], s[14:15], v[110:111]
	v_add_f64 v[44:45], v[44:45], v[124:125]
	v_add_f64 v[46:47], v[46:47], v[94:95]
	v_fma_f64 v[94:95], v[40:41], s[34:35], v[14:15]
	v_fma_f64 v[110:111], v[12:13], s[40:41], v[42:43]
	v_fma_f64 v[14:15], v[40:41], s[34:35], -v[14:15]
	v_fma_f64 v[12:13], v[12:13], s[22:23], v[42:43]
	v_mul_f64 v[18:19], v[18:19], s[36:37]
	v_mul_f64 v[38:39], v[38:39], s[16:17]
	v_add_f64 v[86:87], v[96:97], v[86:87]
	v_fma_f64 v[96:97], v[24:25], s[12:13], v[104:105]
	v_add_f64 v[90:91], v[108:109], v[90:91]
	v_fma_f64 v[108:109], v[20:21], s[20:21], v[112:113]
	v_add_f64 v[40:41], v[92:93], v[98:99]
	v_add_f64 v[42:43], v[106:107], v[100:101]
	;; [unrolled: 1-line block ×4, first 2 shown]
	v_fma_f64 v[94:95], v[36:37], s[28:29], -v[120:121]
	v_fma_f64 v[88:89], v[16:17], s[38:39], v[88:89]
	v_add_f64 v[14:15], v[14:15], v[44:45]
	v_add_f64 v[12:13], v[12:13], v[46:47]
	v_fma_f64 v[44:45], v[36:37], s[16:17], v[18:19]
	v_fma_f64 v[46:47], v[16:17], s[14:15], v[38:39]
	v_fma_f64 v[18:19], v[36:37], s[16:17], -v[18:19]
	v_fma_f64 v[16:17], v[16:17], s[36:37], v[38:39]
	v_mul_f64 v[22:23], v[22:23], s[10:11]
	v_mul_f64 v[26:27], v[26:27], s[18:19]
	v_add_f64 v[86:87], v[96:97], v[86:87]
	v_add_f64 v[90:91], v[108:109], v[90:91]
	v_mul_f64 v[96:97], v[30:31], s[10:11]
	v_mul_f64 v[108:109], v[34:35], s[18:19]
	v_add_f64 v[36:37], v[94:95], v[40:41]
	v_add_f64 v[38:39], v[88:89], v[42:43]
	;; [unrolled: 1-line block ×4, first 2 shown]
	v_fma_f64 v[44:45], v[24:25], s[12:13], -v[104:105]
	v_fma_f64 v[46:47], v[20:21], s[26:27], v[112:113]
	v_add_f64 v[14:15], v[18:19], v[14:15]
	v_add_f64 v[12:13], v[16:17], v[12:13]
	v_fma_f64 v[16:17], v[24:25], s[18:19], v[22:23]
	v_fma_f64 v[18:19], v[20:21], s[30:31], v[26:27]
	v_fma_f64 v[22:23], v[24:25], s[18:19], -v[22:23]
	v_fma_f64 v[20:21], v[20:21], s[10:11], v[26:27]
	v_mul_f64 v[30:31], v[30:31], s[24:25]
	v_mul_f64 v[34:35], v[34:35], s[6:7]
	v_fma_f64 v[48:49], v[32:33], s[18:19], v[96:97]
	v_fma_f64 v[116:117], v[28:29], s[30:31], v[108:109]
	v_add_f64 v[24:25], v[44:45], v[36:37]
	v_add_f64 v[26:27], v[46:47], v[38:39]
	;; [unrolled: 1-line block ×6, first 2 shown]
	v_fma_f64 v[20:21], v[32:33], s[6:7], v[30:31]
	v_fma_f64 v[22:23], v[28:29], s[4:5], v[34:35]
	v_fma_f64 v[16:17], v[32:33], s[18:19], -v[96:97]
	v_fma_f64 v[18:19], v[28:29], s[10:11], v[108:109]
	v_fma_f64 v[30:31], v[32:33], s[6:7], -v[30:31]
	v_fma_f64 v[28:29], v[28:29], s[24:25], v[34:35]
	v_add_f64 v[12:13], v[48:49], v[86:87]
	v_add_f64 v[14:15], v[116:117], v[90:91]
	;; [unrolled: 1-line block ×4, first 2 shown]
	s_movk_i32 s4, 0xc0
	v_add_f64 v[16:17], v[16:17], v[24:25]
	v_add_f64 v[18:19], v[18:19], v[26:27]
	v_add_f64 v[24:25], v[30:31], v[40:41]
	v_add_f64 v[26:27], v[28:29], v[42:43]
	v_mad_u32_u24 v28, v64, s4, v73
	s_barrier
	ds_write_b128 v28, v[4:7]
	ds_write_b128 v28, v[8:11] offset:16
	ds_write_b128 v28, v[52:55] offset:32
	;; [unrolled: 1-line block ×12, first 2 shown]
	s_waitcnt lgkmcnt(0)
	s_barrier
	v_lshl_add_u32 v76, v68, 4, 0
	v_lshl_add_u32 v75, v71, 4, 0
	ds_read_b128 v[12:15], v73
	ds_read_b128 v[60:63], v73 offset:8112
	ds_read_b128 v[56:59], v73 offset:16224
	;; [unrolled: 1-line block ×3, first 2 shown]
	ds_read_b128 v[8:11], v76
	ds_read_b128 v[4:7], v75
	ds_read_b128 v[48:51], v73 offset:10608
	ds_read_b128 v[24:27], v73 offset:13104
	;; [unrolled: 1-line block ×6, first 2 shown]
	v_cmp_gt_u32_e32 vcc, 39, v64
	v_lshl_add_u32 v74, v70, 4, 0
                                        ; implicit-def: $vgpr30_vgpr31
                                        ; implicit-def: $vgpr34_vgpr35
                                        ; implicit-def: $vgpr46_vgpr47
	s_and_saveexec_b64 s[4:5], vcc
	s_cbranch_execz .LBB0_15
; %bb.14:
	ds_read_b128 v[0:3], v74
	ds_read_b128 v[28:31], v73 offset:15600
	ds_read_b128 v[32:35], v73 offset:23712
	;; [unrolled: 1-line block ×3, first 2 shown]
.LBB0_15:
	s_or_b64 exec, exec, s[4:5]
	s_movk_i32 s4, 0x4f
	v_mul_lo_u16_sdwa v65, v64, s4 dst_sel:DWORD dst_unused:UNUSED_PAD src0_sel:BYTE_0 src1_sel:DWORD
	v_lshrrev_b16_e32 v72, 10, v65
	v_mul_lo_u16_e32 v65, 13, v72
	v_sub_u16_e32 v119, v64, v65
	v_mov_b32_e32 v65, 3
	v_mul_u32_u24_sdwa v65, v119, v65 dst_sel:DWORD dst_unused:UNUSED_PAD src0_sel:BYTE_0 src1_sel:DWORD
	v_lshlrev_b32_e32 v65, 4, v65
	global_load_dwordx4 v[77:80], v65, s[8:9]
	global_load_dwordx4 v[81:84], v65, s[8:9] offset:16
	global_load_dwordx4 v[85:88], v65, s[8:9] offset:32
	s_movk_i32 s4, 0x4ec5
	v_mul_u32_u24_sdwa v65, v68, s4 dst_sel:DWORD dst_unused:UNUSED_PAD src0_sel:WORD_0 src1_sel:DWORD
	v_lshrrev_b32_e32 v120, 18, v65
	v_mul_lo_u16_e32 v65, 13, v120
	v_sub_u16_e32 v122, v68, v65
	v_mul_u32_u24_sdwa v69, v71, s4 dst_sel:DWORD dst_unused:UNUSED_PAD src0_sel:WORD_0 src1_sel:DWORD
	v_mul_u32_u24_e32 v65, 3, v122
	v_lshrrev_b32_e32 v121, 18, v69
	v_lshlrev_b32_e32 v69, 4, v65
	global_load_dwordx4 v[89:92], v69, s[8:9]
	v_mul_u32_u24_sdwa v93, v70, s4 dst_sel:DWORD dst_unused:UNUSED_PAD src0_sel:WORD_0 src1_sel:DWORD
	v_lshrrev_b32_e32 v65, 18, v93
	v_mul_lo_u16_e32 v93, 13, v121
	v_sub_u16_e32 v123, v71, v93
	global_load_dwordx4 v[93:96], v69, s[8:9] offset:32
	global_load_dwordx4 v[97:100], v69, s[8:9] offset:16
	v_mul_u32_u24_e32 v69, 3, v123
	v_mul_lo_u16_e32 v111, 13, v65
	v_lshlrev_b32_e32 v115, 4, v69
	global_load_dwordx4 v[101:104], v115, s[8:9] offset:16
	global_load_dwordx4 v[105:108], v115, s[8:9]
	v_sub_u16_e32 v69, v70, v111
	v_mul_u32_u24_e32 v72, 0x340, v72
	s_waitcnt vmcnt(7) lgkmcnt(10)
	v_mul_f64 v[109:110], v[62:63], v[79:80]
	v_mul_f64 v[79:80], v[60:61], v[79:80]
	s_waitcnt vmcnt(6) lgkmcnt(9)
	v_mul_f64 v[111:112], v[58:59], v[83:84]
	v_mul_f64 v[83:84], v[56:57], v[83:84]
	v_fma_f64 v[109:110], v[60:61], v[77:78], v[109:110]
	v_fma_f64 v[113:114], v[62:63], v[77:78], -v[79:80]
	v_mul_u32_u24_e32 v77, 3, v69
	v_lshlrev_b32_e32 v117, 4, v77
	global_load_dwordx4 v[60:63], v115, s[8:9] offset:32
	global_load_dwordx4 v[77:80], v117, s[8:9]
	v_fma_f64 v[111:112], v[56:57], v[81:82], v[111:112]
	v_fma_f64 v[115:116], v[58:59], v[81:82], -v[83:84]
	global_load_dwordx4 v[56:59], v117, s[8:9] offset:16
	global_load_dwordx4 v[81:84], v117, s[8:9] offset:32
	s_waitcnt vmcnt(9) lgkmcnt(3)
	v_mul_f64 v[117:118], v[54:55], v[87:88]
	v_mul_f64 v[87:88], v[52:53], v[87:88]
	s_waitcnt vmcnt(0) lgkmcnt(0)
	s_barrier
	v_fma_f64 v[52:53], v[52:53], v[85:86], v[117:118]
	v_fma_f64 v[54:55], v[54:55], v[85:86], -v[87:88]
	v_mul_f64 v[85:86], v[50:51], v[91:92]
	v_mul_f64 v[87:88], v[48:49], v[91:92]
	;; [unrolled: 1-line block ×4, first 2 shown]
	v_fma_f64 v[48:49], v[48:49], v[89:90], v[85:86]
	v_fma_f64 v[50:51], v[50:51], v[89:90], -v[87:88]
	v_mul_f64 v[85:86], v[42:43], v[95:96]
	v_mul_f64 v[87:88], v[40:41], v[95:96]
	;; [unrolled: 1-line block ×4, first 2 shown]
	v_fma_f64 v[36:37], v[36:37], v[97:98], v[91:92]
	v_fma_f64 v[38:39], v[38:39], v[97:98], -v[99:100]
	v_mul_f64 v[91:92], v[18:19], v[103:104]
	v_mul_f64 v[97:98], v[16:17], v[103:104]
	v_fma_f64 v[40:41], v[40:41], v[93:94], v[85:86]
	v_fma_f64 v[42:43], v[42:43], v[93:94], -v[87:88]
	v_fma_f64 v[89:90], v[24:25], v[105:106], v[89:90]
	v_fma_f64 v[93:94], v[26:27], v[105:106], -v[95:96]
	;; [unrolled: 2-line block ×3, first 2 shown]
	v_mul_f64 v[99:100], v[22:23], v[62:63]
	v_mul_f64 v[62:63], v[20:21], v[62:63]
	;; [unrolled: 1-line block ×8, first 2 shown]
	v_fma_f64 v[20:21], v[20:21], v[60:61], v[99:100]
	v_fma_f64 v[22:23], v[22:23], v[60:61], -v[62:63]
	v_fma_f64 v[60:61], v[28:29], v[77:78], v[85:86]
	v_fma_f64 v[62:63], v[30:31], v[77:78], -v[79:80]
	;; [unrolled: 2-line block ×4, first 2 shown]
	v_add_f64 v[44:45], v[109:110], -v[52:53]
	v_add_f64 v[46:47], v[113:114], -v[54:55]
	;; [unrolled: 1-line block ×10, first 2 shown]
	v_fma_f64 v[8:9], v[8:9], 2.0, -v[52:53]
	v_fma_f64 v[10:11], v[10:11], 2.0, -v[54:55]
	v_fma_f64 v[28:29], v[48:49], 2.0, -v[36:37]
	v_fma_f64 v[30:31], v[50:51], 2.0, -v[38:39]
	v_add_f64 v[77:78], v[4:5], -v[16:17]
	v_add_f64 v[79:80], v[6:7], -v[18:19]
	v_add_f64 v[56:57], v[89:90], -v[20:21]
	v_add_f64 v[58:59], v[93:94], -v[22:23]
	v_add_f64 v[85:86], v[60:61], -v[24:25]
	v_add_f64 v[87:88], v[62:63], -v[26:27]
	v_fma_f64 v[12:13], v[12:13], 2.0, -v[32:33]
	v_fma_f64 v[14:15], v[14:15], 2.0, -v[34:35]
	;; [unrolled: 1-line block ×4, first 2 shown]
	v_add_f64 v[28:29], v[8:9], -v[28:29]
	v_add_f64 v[30:31], v[10:11], -v[30:31]
	v_fma_f64 v[91:92], v[4:5], 2.0, -v[77:78]
	v_fma_f64 v[95:96], v[6:7], 2.0, -v[79:80]
	;; [unrolled: 1-line block ×4, first 2 shown]
	v_add_f64 v[24:25], v[12:13], -v[24:25]
	v_add_f64 v[26:27], v[14:15], -v[26:27]
	v_fma_f64 v[40:41], v[8:9], 2.0, -v[28:29]
	v_fma_f64 v[42:43], v[10:11], 2.0, -v[30:31]
	;; [unrolled: 1-line block ×6, first 2 shown]
	v_add_f64 v[20:21], v[52:53], v[38:39]
	v_add_f64 v[22:23], v[54:55], -v[36:37]
	v_add_f64 v[16:17], v[32:33], v[46:47]
	v_add_f64 v[18:19], v[34:35], -v[44:45]
	v_fma_f64 v[36:37], v[12:13], 2.0, -v[24:25]
	v_fma_f64 v[38:39], v[14:15], 2.0, -v[26:27]
	v_add_f64 v[48:49], v[91:92], -v[4:5]
	v_add_f64 v[50:51], v[95:96], -v[6:7]
	v_add_f64 v[4:5], v[0:1], -v[8:9]
	v_add_f64 v[6:7], v[2:3], -v[10:11]
	v_add_f64 v[12:13], v[81:82], v[87:88]
	v_add_f64 v[14:15], v[83:84], -v[85:86]
	v_fma_f64 v[44:45], v[52:53], 2.0, -v[20:21]
	v_fma_f64 v[46:47], v[54:55], 2.0, -v[22:23]
	v_add_f64 v[52:53], v[77:78], v[58:59]
	v_add_f64 v[54:55], v[79:80], -v[56:57]
	v_fma_f64 v[32:33], v[32:33], 2.0, -v[16:17]
	v_fma_f64 v[34:35], v[34:35], 2.0, -v[18:19]
	;; [unrolled: 1-line block ×10, first 2 shown]
	v_mov_b32_e32 v77, 4
	v_lshlrev_b32_sdwa v77, v77, v119 dst_sel:DWORD dst_unused:UNUSED_PAD src0_sel:DWORD src1_sel:BYTE_0
	v_add3_u32 v72, 0, v72, v77
	ds_write_b128 v72, v[36:39]
	ds_write_b128 v72, v[32:35] offset:208
	ds_write_b128 v72, v[24:27] offset:416
	;; [unrolled: 1-line block ×3, first 2 shown]
	v_mul_u32_u24_e32 v16, 0x340, v120
	v_lshlrev_b32_e32 v17, 4, v122
	v_add3_u32 v16, 0, v16, v17
	ds_write_b128 v16, v[40:43]
	ds_write_b128 v16, v[44:47] offset:208
	ds_write_b128 v16, v[28:31] offset:416
	;; [unrolled: 1-line block ×3, first 2 shown]
	v_mul_u32_u24_e32 v16, 0x340, v121
	v_lshlrev_b32_e32 v17, 4, v123
	v_add3_u32 v16, 0, v16, v17
	ds_write_b128 v16, v[56:59]
	ds_write_b128 v16, v[60:63] offset:208
	ds_write_b128 v16, v[48:51] offset:416
	;; [unrolled: 1-line block ×3, first 2 shown]
	s_and_saveexec_b64 s[4:5], vcc
	s_cbranch_execz .LBB0_17
; %bb.16:
	v_mul_lo_u16_e32 v16, 52, v65
	v_lshlrev_b32_e32 v17, 4, v69
	v_lshlrev_b32_e32 v16, 4, v16
	v_add3_u32 v16, 0, v17, v16
	ds_write_b128 v16, v[0:3]
	ds_write_b128 v16, v[8:11] offset:208
	ds_write_b128 v16, v[4:7] offset:416
	;; [unrolled: 1-line block ×3, first 2 shown]
.LBB0_17:
	s_or_b64 exec, exec, s[4:5]
	s_waitcnt lgkmcnt(0)
	s_barrier
	ds_read_b128 v[48:51], v73 offset:10816
	ds_read_b128 v[28:31], v73 offset:13312
	;; [unrolled: 1-line block ×4, first 2 shown]
	ds_read_b128 v[20:23], v76
	ds_read_b128 v[12:15], v75
	ds_read_b128 v[24:27], v73
	ds_read_b128 v[16:19], v74
	ds_read_b128 v[52:55], v73 offset:15808
	ds_read_b128 v[36:39], v73 offset:18304
	;; [unrolled: 1-line block ×4, first 2 shown]
	v_cmp_gt_u32_e32 vcc, 52, v64
	s_and_saveexec_b64 s[4:5], vcc
	s_cbranch_execz .LBB0_19
; %bb.18:
	ds_read_b128 v[0:3], v73 offset:9984
	ds_read_b128 v[8:11], v73 offset:20800
	;; [unrolled: 1-line block ×3, first 2 shown]
.LBB0_19:
	s_or_b64 exec, exec, s[4:5]
	s_movk_i32 s4, 0x4f
	v_mul_lo_u16_sdwa v60, v64, s4 dst_sel:DWORD dst_unused:UNUSED_PAD src0_sel:BYTE_0 src1_sel:DWORD
	v_lshrrev_b16_e32 v63, 12, v60
	v_mul_lo_u16_e32 v60, 52, v63
	v_sub_u16_e32 v65, v64, v60
	v_mov_b32_e32 v60, 5
	v_lshlrev_b32_sdwa v60, v60, v65 dst_sel:DWORD dst_unused:UNUSED_PAD src0_sel:DWORD src1_sel:BYTE_0
	s_movk_i32 s12, 0x4ec5
	global_load_dwordx4 v[77:80], v60, s[8:9] offset:640
	global_load_dwordx4 v[81:84], v60, s[8:9] offset:624
	v_mul_u32_u24_sdwa v60, v68, s12 dst_sel:DWORD dst_unused:UNUSED_PAD src0_sel:WORD_0 src1_sel:DWORD
	v_lshrrev_b32_e32 v69, 20, v60
	v_mul_lo_u16_e32 v60, 52, v69
	v_sub_u16_e32 v72, v68, v60
	v_lshlrev_b32_e32 v60, 5, v72
	global_load_dwordx4 v[85:88], v60, s[8:9] offset:640
	global_load_dwordx4 v[89:92], v60, s[8:9] offset:624
	v_mul_u32_u24_sdwa v60, v71, s12 dst_sel:DWORD dst_unused:UNUSED_PAD src0_sel:WORD_0 src1_sel:DWORD
	v_lshrrev_b32_e32 v121, 20, v60
	v_mul_lo_u16_e32 v60, 52, v121
	v_sub_u16_e32 v122, v71, v60
	v_lshlrev_b32_e32 v60, 5, v122
	;; [unrolled: 7-line block ×3, first 2 shown]
	global_load_dwordx4 v[101:104], v60, s[8:9] offset:624
	global_load_dwordx4 v[105:108], v60, s[8:9] offset:640
	s_mov_b32 s4, 0xe8584caa
	s_mov_b32 s5, 0xbfebb67a
	;; [unrolled: 1-line block ×4, first 2 shown]
	s_waitcnt vmcnt(0) lgkmcnt(0)
	s_barrier
	v_add_u32_e32 v60, 0x270, v64
	v_mul_f64 v[109:110], v[46:47], v[79:80]
	v_mul_f64 v[61:62], v[50:51], v[83:84]
	;; [unrolled: 1-line block ×8, first 2 shown]
	v_fma_f64 v[48:49], v[48:49], v[81:82], v[61:62]
	v_fma_f64 v[50:51], v[50:51], v[81:82], -v[83:84]
	v_mul_f64 v[117:118], v[58:59], v[95:96]
	v_mul_f64 v[115:116], v[54:55], v[99:100]
	;; [unrolled: 1-line block ×4, first 2 shown]
	v_fma_f64 v[44:45], v[44:45], v[77:78], v[109:110]
	v_fma_f64 v[46:47], v[46:47], v[77:78], -v[79:80]
	v_mul_f64 v[119:120], v[38:39], v[103:104]
	v_mul_f64 v[61:62], v[36:37], v[103:104]
	;; [unrolled: 1-line block ×4, first 2 shown]
	v_fma_f64 v[28:29], v[28:29], v[89:90], v[111:112]
	v_fma_f64 v[30:31], v[30:31], v[89:90], -v[91:92]
	v_fma_f64 v[32:33], v[32:33], v[85:86], v[113:114]
	v_fma_f64 v[34:35], v[34:35], v[85:86], -v[87:88]
	;; [unrolled: 2-line block ×6, first 2 shown]
	v_add_f64 v[42:43], v[24:25], v[48:49]
	v_add_f64 v[77:78], v[48:49], v[44:45]
	v_add_f64 v[79:80], v[50:51], -v[46:47]
	v_add_f64 v[81:82], v[26:27], v[50:51]
	v_add_f64 v[50:51], v[50:51], v[46:47]
	;; [unrolled: 1-line block ×5, first 2 shown]
	v_add_f64 v[99:100], v[54:55], -v[58:59]
	v_add_f64 v[101:102], v[14:15], v[54:55]
	v_add_f64 v[54:55], v[54:55], v[58:59]
	;; [unrolled: 1-line block ×3, first 2 shown]
	v_add_f64 v[107:108], v[38:39], -v[61:62]
	v_add_f64 v[109:110], v[18:19], v[38:39]
	v_add_f64 v[38:39], v[38:39], v[61:62]
	v_add_f64 v[48:49], v[48:49], -v[44:45]
	v_add_f64 v[83:84], v[20:21], v[28:29]
	v_add_f64 v[93:94], v[28:29], -v[32:33]
	;; [unrolled: 2-line block ×3, first 2 shown]
	v_add_f64 v[28:29], v[42:43], v[44:45]
	v_fma_f64 v[36:37], v[77:78], -0.5, v[24:25]
	v_fma_f64 v[42:43], v[50:51], -0.5, v[26:27]
	v_add_f64 v[89:90], v[22:23], v[30:31]
	v_add_f64 v[87:88], v[30:31], -v[34:35]
	v_add_f64 v[30:31], v[81:82], v[46:47]
	v_fma_f64 v[44:45], v[85:86], -0.5, v[20:21]
	v_fma_f64 v[46:47], v[91:92], -0.5, v[22:23]
	v_add_f64 v[95:96], v[12:13], v[52:53]
	v_add_f64 v[52:53], v[52:53], -v[56:57]
	v_fma_f64 v[50:51], v[97:98], -0.5, v[12:13]
	v_fma_f64 v[14:15], v[54:55], -0.5, v[14:15]
	v_add_f64 v[22:23], v[101:102], v[58:59]
	v_fma_f64 v[54:55], v[105:106], -0.5, v[16:17]
	v_fma_f64 v[58:59], v[38:39], -0.5, v[18:19]
	v_fma_f64 v[16:17], v[79:80], s[4:5], v[36:37]
	v_fma_f64 v[18:19], v[48:49], s[6:7], v[42:43]
	v_add_f64 v[24:25], v[83:84], v[32:33]
	v_add_f64 v[26:27], v[89:90], v[34:35]
	v_fma_f64 v[32:33], v[79:80], s[6:7], v[36:37]
	v_fma_f64 v[34:35], v[48:49], s[4:5], v[42:43]
	;; [unrolled: 1-line block ×4, first 2 shown]
	v_add_f64 v[20:21], v[95:96], v[56:57]
	v_add_f64 v[12:13], v[103:104], v[40:41]
	v_fma_f64 v[40:41], v[87:88], s[6:7], v[44:45]
	v_fma_f64 v[42:43], v[93:94], s[4:5], v[46:47]
	;; [unrolled: 1-line block ×6, first 2 shown]
	v_add_f64 v[14:15], v[109:110], v[61:62]
	v_mov_b32_e32 v62, 4
	v_mul_u32_u24_e32 v61, 0x9c0, v63
	v_lshlrev_b32_sdwa v62, v62, v65 dst_sel:DWORD dst_unused:UNUSED_PAD src0_sel:DWORD src1_sel:BYTE_0
	v_fma_f64 v[52:53], v[107:108], s[4:5], v[54:55]
	v_fma_f64 v[56:57], v[107:108], s[6:7], v[54:55]
	;; [unrolled: 1-line block ×3, first 2 shown]
	v_add3_u32 v61, 0, v61, v62
	v_fma_f64 v[58:59], v[111:112], s[4:5], v[58:59]
	ds_write_b128 v61, v[28:31]
	ds_write_b128 v61, v[16:19] offset:832
	ds_write_b128 v61, v[32:35] offset:1664
	v_mul_u32_u24_e32 v16, 0x9c0, v69
	v_lshlrev_b32_e32 v17, 4, v72
	v_add3_u32 v16, 0, v16, v17
	ds_write_b128 v16, v[24:27]
	ds_write_b128 v16, v[36:39] offset:832
	ds_write_b128 v16, v[40:43] offset:1664
	v_mul_u32_u24_e32 v16, 0x9c0, v121
	v_lshlrev_b32_e32 v17, 4, v122
	v_add3_u32 v16, 0, v16, v17
	;; [unrolled: 6-line block ×3, first 2 shown]
	ds_write_b128 v16, v[12:15]
	ds_write_b128 v16, v[52:55] offset:832
	ds_write_b128 v16, v[56:59] offset:1664
	s_and_saveexec_b64 s[10:11], vcc
	s_cbranch_execz .LBB0_21
; %bb.20:
	v_mul_u32_u24_sdwa v12, v60, s12 dst_sel:DWORD dst_unused:UNUSED_PAD src0_sel:WORD_0 src1_sel:DWORD
	v_lshrrev_b32_e32 v12, 20, v12
	v_mul_lo_u16_e32 v12, 52, v12
	v_sub_u16_e32 v24, v60, v12
	v_lshlrev_b32_e32 v20, 5, v24
	global_load_dwordx4 v[12:15], v20, s[8:9] offset:624
	global_load_dwordx4 v[16:19], v20, s[8:9] offset:640
	s_waitcnt vmcnt(1)
	v_mul_f64 v[20:21], v[8:9], v[14:15]
	s_waitcnt vmcnt(0)
	v_mul_f64 v[22:23], v[4:5], v[18:19]
	v_mul_f64 v[14:15], v[10:11], v[14:15]
	;; [unrolled: 1-line block ×3, first 2 shown]
	v_fma_f64 v[10:11], v[10:11], v[12:13], -v[20:21]
	v_fma_f64 v[6:7], v[6:7], v[16:17], -v[22:23]
	v_fma_f64 v[8:9], v[8:9], v[12:13], v[14:15]
	v_fma_f64 v[4:5], v[4:5], v[16:17], v[18:19]
	v_add_f64 v[18:19], v[2:3], v[10:11]
	v_add_f64 v[12:13], v[10:11], v[6:7]
	v_add_f64 v[20:21], v[10:11], -v[6:7]
	v_add_f64 v[14:15], v[8:9], v[4:5]
	v_add_f64 v[16:17], v[8:9], -v[4:5]
	v_add_f64 v[8:9], v[0:1], v[8:9]
	v_fma_f64 v[12:13], v[12:13], -0.5, v[2:3]
	v_add_f64 v[2:3], v[18:19], v[6:7]
	v_fma_f64 v[14:15], v[14:15], -0.5, v[0:1]
	v_add_f64 v[0:1], v[8:9], v[4:5]
	v_fma_f64 v[10:11], v[16:17], s[6:7], v[12:13]
	v_fma_f64 v[6:7], v[16:17], s[4:5], v[12:13]
	;; [unrolled: 1-line block ×4, first 2 shown]
	v_lshl_add_u32 v12, v24, 4, 0
	ds_write_b128 v12, v[0:3] offset:29952
	ds_write_b128 v12, v[8:11] offset:30784
	;; [unrolled: 1-line block ×3, first 2 shown]
.LBB0_21:
	s_or_b64 exec, exec, s[10:11]
	v_mul_u32_u24_e32 v0, 12, v64
	v_lshlrev_b32_e32 v48, 4, v0
	s_waitcnt lgkmcnt(0)
	s_barrier
	global_load_dwordx4 v[0:3], v48, s[8:9] offset:2288
	global_load_dwordx4 v[4:7], v48, s[8:9] offset:2304
	;; [unrolled: 1-line block ×12, first 2 shown]
	ds_read_b128 v[48:51], v76
	ds_read_b128 v[52:55], v75
	;; [unrolled: 1-line block ×4, first 2 shown]
	ds_read_b128 v[81:84], v73 offset:9984
	ds_read_b128 v[85:88], v73 offset:12480
	;; [unrolled: 1-line block ×9, first 2 shown]
	s_mov_b32 s28, 0x4267c47c
	s_mov_b32 s29, 0xbfddbe06
	;; [unrolled: 1-line block ×33, first 2 shown]
	s_waitcnt vmcnt(0) lgkmcnt(0)
	s_barrier
	v_cmp_ne_u32_e32 vcc, 0, v64
	v_mul_f64 v[61:62], v[50:51], v[2:3]
	v_mul_f64 v[2:3], v[48:49], v[2:3]
	;; [unrolled: 1-line block ×8, first 2 shown]
	v_fma_f64 v[48:49], v[48:49], v[0:1], v[61:62]
	v_fma_f64 v[0:1], v[50:51], v[0:1], -v[2:3]
	v_mul_f64 v[2:3], v[85:86], v[18:19]
	v_mul_f64 v[18:19], v[91:92], v[22:23]
	;; [unrolled: 1-line block ×3, first 2 shown]
	v_fma_f64 v[52:53], v[52:53], v[4:5], v[117:118]
	v_fma_f64 v[54:55], v[54:55], v[4:5], -v[6:7]
	v_fma_f64 v[81:82], v[81:82], v[12:13], v[121:122]
	v_fma_f64 v[12:13], v[83:84], v[12:13], -v[14:15]
	;; [unrolled: 2-line block ×3, first 2 shown]
	v_fma_f64 v[4:5], v[89:90], v[20:21], v[18:19]
	v_add_f64 v[2:3], v[56:57], v[48:49]
	v_add_f64 v[18:19], v[58:59], v[0:1]
	v_fma_f64 v[77:78], v[77:78], v[8:9], v[119:120]
	v_fma_f64 v[79:80], v[79:80], v[8:9], -v[10:11]
	v_mul_f64 v[22:23], v[89:90], v[22:23]
	v_mul_f64 v[50:51], v[95:96], v[26:27]
	;; [unrolled: 1-line block ×4, first 2 shown]
	v_add_f64 v[2:3], v[2:3], v[52:53]
	v_add_f64 v[18:19], v[18:19], v[54:55]
	v_mul_f64 v[14:15], v[109:110], v[42:43]
	v_mul_f64 v[42:43], v[115:116], v[46:47]
	;; [unrolled: 1-line block ×3, first 2 shown]
	v_fma_f64 v[8:9], v[91:92], v[20:21], -v[22:23]
	v_mul_f64 v[61:62], v[99:100], v[30:31]
	v_mul_f64 v[30:31], v[97:98], v[30:31]
	v_add_f64 v[2:3], v[2:3], v[77:78]
	v_add_f64 v[18:19], v[18:19], v[79:80]
	v_mul_f64 v[117:118], v[103:104], v[34:35]
	v_mul_f64 v[34:35], v[101:102], v[34:35]
	;; [unrolled: 1-line block ×4, first 2 shown]
	v_fma_f64 v[6:7], v[93:94], v[24:25], v[50:51]
	v_fma_f64 v[10:11], v[95:96], v[24:25], -v[26:27]
	v_add_f64 v[2:3], v[2:3], v[81:82]
	v_add_f64 v[18:19], v[18:19], v[12:13]
	v_fma_f64 v[24:25], v[115:116], v[44:45], -v[46:47]
	v_fma_f64 v[20:21], v[97:98], v[28:29], v[61:62]
	v_fma_f64 v[22:23], v[99:100], v[28:29], -v[30:31]
	v_fma_f64 v[26:27], v[101:102], v[32:33], v[117:118]
	;; [unrolled: 2-line block ×3, first 2 shown]
	v_add_f64 v[2:3], v[2:3], v[83:84]
	v_add_f64 v[18:19], v[18:19], v[16:17]
	v_fma_f64 v[32:33], v[113:114], v[44:45], v[42:43]
	v_fma_f64 v[34:35], v[107:108], v[36:37], -v[38:39]
	v_add_f64 v[36:37], v[0:1], -v[24:25]
	v_add_f64 v[38:39], v[0:1], v[24:25]
	v_fma_f64 v[42:43], v[109:110], v[40:41], v[125:126]
	v_fma_f64 v[14:15], v[111:112], v[40:41], -v[14:15]
	v_add_f64 v[2:3], v[2:3], v[4:5]
	v_add_f64 v[18:19], v[18:19], v[8:9]
	;; [unrolled: 1-line block ×3, first 2 shown]
	v_add_f64 v[44:45], v[48:49], -v[32:33]
	v_mul_f64 v[0:1], v[36:37], s[28:29]
	v_mul_f64 v[48:49], v[36:37], s[12:13]
	v_mul_f64 v[50:51], v[38:39], s[14:15]
	v_mul_f64 v[61:62], v[36:37], s[4:5]
	v_add_f64 v[2:3], v[2:3], v[6:7]
	v_add_f64 v[18:19], v[18:19], v[10:11]
	v_mul_f64 v[85:86], v[38:39], s[6:7]
	v_mul_f64 v[87:88], v[36:37], s[16:17]
	v_fma_f64 v[95:96], v[40:41], s[22:23], v[0:1]
	v_fma_f64 v[0:1], v[40:41], s[22:23], -v[0:1]
	v_mul_f64 v[89:90], v[38:39], s[20:21]
	v_mul_f64 v[91:92], v[36:37], s[30:31]
	v_add_f64 v[2:3], v[2:3], v[20:21]
	v_add_f64 v[18:19], v[18:19], v[22:23]
	v_mul_f64 v[93:94], v[38:39], s[34:35]
	v_mul_f64 v[46:47], v[38:39], s[22:23]
	;; [unrolled: 1-line block ×3, first 2 shown]
	v_add_f64 v[115:116], v[56:57], v[0:1]
	v_fma_f64 v[99:100], v[40:41], s[14:15], v[48:49]
	v_fma_f64 v[101:102], v[44:45], s[18:19], v[50:51]
	v_add_f64 v[2:3], v[2:3], v[26:27]
	v_add_f64 v[18:19], v[18:19], v[28:29]
	v_fma_f64 v[48:49], v[40:41], s[14:15], -v[48:49]
	v_fma_f64 v[50:51], v[44:45], s[12:13], v[50:51]
	v_fma_f64 v[103:104], v[40:41], s[6:7], v[61:62]
	;; [unrolled: 1-line block ×5, first 2 shown]
	v_add_f64 v[0:1], v[2:3], v[30:31]
	v_add_f64 v[2:3], v[18:19], v[34:35]
	v_fma_f64 v[111:112], v[40:41], s[34:35], v[91:92]
	v_fma_f64 v[113:114], v[44:45], s[36:37], v[93:94]
	;; [unrolled: 1-line block ×4, first 2 shown]
	v_fma_f64 v[61:62], v[40:41], s[6:7], -v[61:62]
	v_fma_f64 v[85:86], v[44:45], s[4:5], v[85:86]
	v_add_f64 v[0:1], v[0:1], v[42:43]
	v_add_f64 v[2:3], v[2:3], v[14:15]
	v_fma_f64 v[87:88], v[40:41], s[20:21], -v[87:88]
	v_fma_f64 v[89:90], v[44:45], s[16:17], v[89:90]
	v_fma_f64 v[91:92], v[40:41], s[34:35], -v[91:92]
	v_fma_f64 v[93:94], v[44:45], s[30:31], v[93:94]
	v_add_f64 v[18:19], v[56:57], v[48:49]
	v_add_f64 v[48:49], v[58:59], v[50:51]
	;; [unrolled: 1-line block ×5, first 2 shown]
	v_add_f64 v[14:15], v[54:55], -v[14:15]
	v_mul_f64 v[32:33], v[38:39], s[40:41]
	v_add_f64 v[50:51], v[56:57], v[103:104]
	v_add_f64 v[103:104], v[58:59], v[105:106]
	;; [unrolled: 1-line block ×6, first 2 shown]
	v_fma_f64 v[38:39], v[40:41], s[40:41], v[36:37]
	v_add_f64 v[54:55], v[52:53], v[42:43]
	v_add_f64 v[42:43], v[52:53], -v[42:43]
	v_mul_f64 v[52:53], v[14:15], s[12:13]
	v_mul_f64 v[113:114], v[24:25], s[14:15]
	v_fma_f64 v[117:118], v[44:45], s[42:43], v[32:33]
	v_fma_f64 v[36:37], v[40:41], s[40:41], -v[36:37]
	v_fma_f64 v[32:33], v[44:45], s[38:39], v[32:33]
	v_add_f64 v[95:96], v[56:57], v[95:96]
	v_add_f64 v[97:98], v[58:59], v[97:98]
	v_add_f64 v[46:47], v[58:59], v[46:47]
	v_add_f64 v[99:100], v[56:57], v[99:100]
	v_add_f64 v[101:102], v[58:59], v[101:102]
	v_add_f64 v[61:62], v[56:57], v[61:62]
	v_add_f64 v[85:86], v[58:59], v[85:86]
	v_add_f64 v[87:88], v[56:57], v[87:88]
	v_add_f64 v[89:90], v[58:59], v[89:90]
	v_add_f64 v[40:41], v[56:57], v[91:92]
	v_add_f64 v[44:45], v[58:59], v[93:94]
	v_fma_f64 v[91:92], v[54:55], s[14:15], v[52:53]
	v_fma_f64 v[93:94], v[42:43], s[18:19], v[113:114]
	v_add_f64 v[38:39], v[56:57], v[38:39]
	v_add_f64 v[117:118], v[58:59], v[117:118]
	v_add_f64 v[36:37], v[56:57], v[36:37]
	v_add_f64 v[32:33], v[58:59], v[32:33]
	v_mul_f64 v[56:57], v[14:15], s[16:17]
	v_mul_f64 v[58:59], v[24:25], s[20:21]
	v_add_f64 v[91:92], v[91:92], v[95:96]
	v_add_f64 v[93:94], v[93:94], v[97:98]
	v_fma_f64 v[52:53], v[54:55], s[14:15], -v[52:53]
	v_fma_f64 v[95:96], v[42:43], s[12:13], v[113:114]
	v_mul_f64 v[97:98], v[14:15], s[38:39]
	v_mul_f64 v[113:114], v[24:25], s[40:41]
	v_fma_f64 v[119:120], v[54:55], s[20:21], v[56:57]
	v_fma_f64 v[121:122], v[42:43], s[24:25], v[58:59]
	v_fma_f64 v[56:57], v[54:55], s[20:21], -v[56:57]
	v_fma_f64 v[58:59], v[42:43], s[16:17], v[58:59]
	v_add_f64 v[52:53], v[52:53], v[115:116]
	v_add_f64 v[46:47], v[95:96], v[46:47]
	v_fma_f64 v[95:96], v[54:55], s[40:41], v[97:98]
	v_fma_f64 v[115:116], v[42:43], s[42:43], v[113:114]
	v_add_f64 v[99:100], v[119:120], v[99:100]
	v_add_f64 v[101:102], v[121:122], v[101:102]
	;; [unrolled: 1-line block ×4, first 2 shown]
	v_mul_f64 v[56:57], v[14:15], s[36:37]
	v_mul_f64 v[58:59], v[24:25], s[34:35]
	v_add_f64 v[50:51], v[95:96], v[50:51]
	v_add_f64 v[95:96], v[115:116], v[103:104]
	v_mul_f64 v[103:104], v[14:15], s[10:11]
	v_mul_f64 v[115:116], v[24:25], s[6:7]
	v_fma_f64 v[97:98], v[54:55], s[40:41], -v[97:98]
	v_fma_f64 v[113:114], v[42:43], s[38:39], v[113:114]
	v_fma_f64 v[119:120], v[54:55], s[34:35], v[56:57]
	;; [unrolled: 1-line block ×3, first 2 shown]
	v_fma_f64 v[56:57], v[54:55], s[34:35], -v[56:57]
	v_fma_f64 v[58:59], v[42:43], s[36:37], v[58:59]
	v_fma_f64 v[123:124], v[54:55], s[6:7], v[103:104]
	;; [unrolled: 1-line block ×3, first 2 shown]
	v_add_f64 v[61:62], v[97:98], v[61:62]
	v_mul_f64 v[14:15], v[14:15], s[26:27]
	v_add_f64 v[97:98], v[119:120], v[105:106]
	v_add_f64 v[105:106], v[121:122], v[107:108]
	v_add_f64 v[107:108], v[79:80], -v[34:35]
	v_add_f64 v[34:35], v[79:80], v[34:35]
	v_add_f64 v[56:57], v[56:57], v[87:88]
	;; [unrolled: 1-line block ×5, first 2 shown]
	v_mul_f64 v[24:25], v[24:25], s[22:23]
	v_fma_f64 v[79:80], v[54:55], s[6:7], -v[103:104]
	v_fma_f64 v[103:104], v[42:43], s[10:11], v[115:116]
	v_add_f64 v[109:110], v[77:78], v[30:31]
	v_add_f64 v[30:31], v[77:78], -v[30:31]
	v_mul_f64 v[77:78], v[107:108], s[4:5]
	v_mul_f64 v[111:112], v[34:35], s[6:7]
	v_add_f64 v[85:86], v[113:114], v[85:86]
	v_fma_f64 v[113:114], v[54:55], s[22:23], v[14:15]
	v_fma_f64 v[115:116], v[42:43], s[28:29], v[24:25]
	v_fma_f64 v[14:15], v[54:55], s[22:23], -v[14:15]
	v_fma_f64 v[24:25], v[42:43], s[26:27], v[24:25]
	v_add_f64 v[42:43], v[103:104], v[44:45]
	v_fma_f64 v[44:45], v[109:110], s[6:7], v[77:78]
	v_fma_f64 v[54:55], v[30:31], s[10:11], v[111:112]
	v_fma_f64 v[77:78], v[109:110], s[6:7], -v[77:78]
	v_mul_f64 v[103:104], v[34:35], s[20:21]
	v_add_f64 v[38:39], v[113:114], v[38:39]
	v_add_f64 v[14:15], v[14:15], v[36:37]
	;; [unrolled: 1-line block ×3, first 2 shown]
	v_mul_f64 v[32:33], v[107:108], s[38:39]
	v_mul_f64 v[36:37], v[34:35], s[40:41]
	v_add_f64 v[44:45], v[44:45], v[91:92]
	v_add_f64 v[54:55], v[54:55], v[93:94]
	v_fma_f64 v[91:92], v[30:31], s[4:5], v[111:112]
	v_mul_f64 v[93:94], v[107:108], s[24:25]
	v_add_f64 v[52:53], v[77:78], v[52:53]
	v_add_f64 v[40:41], v[79:80], v[40:41]
	v_fma_f64 v[111:112], v[109:110], s[40:41], v[32:33]
	v_fma_f64 v[113:114], v[30:31], s[42:43], v[36:37]
	v_fma_f64 v[32:33], v[109:110], s[40:41], -v[32:33]
	v_fma_f64 v[36:37], v[30:31], s[38:39], v[36:37]
	v_add_f64 v[46:47], v[91:92], v[46:47]
	v_fma_f64 v[77:78], v[109:110], s[20:21], v[93:94]
	v_fma_f64 v[91:92], v[30:31], s[16:17], v[103:104]
	v_add_f64 v[79:80], v[115:116], v[117:118]
	v_add_f64 v[99:100], v[111:112], v[99:100]
	;; [unrolled: 1-line block ×5, first 2 shown]
	v_mul_f64 v[36:37], v[107:108], s[26:27]
	v_add_f64 v[50:51], v[77:78], v[50:51]
	v_add_f64 v[77:78], v[91:92], v[95:96]
	v_mul_f64 v[91:92], v[107:108], s[12:13]
	v_mul_f64 v[48:49], v[34:35], s[22:23]
	;; [unrolled: 1-line block ×3, first 2 shown]
	v_fma_f64 v[103:104], v[30:31], s[24:25], v[103:104]
	v_fma_f64 v[93:94], v[109:110], s[20:21], -v[93:94]
	v_fma_f64 v[111:112], v[109:110], s[22:23], v[36:37]
	v_fma_f64 v[36:37], v[109:110], s[22:23], -v[36:37]
	v_mul_f64 v[34:35], v[34:35], s[34:35]
	v_fma_f64 v[115:116], v[109:110], s[14:15], v[91:92]
	v_fma_f64 v[113:114], v[30:31], s[28:29], v[48:49]
	;; [unrolled: 1-line block ×4, first 2 shown]
	v_add_f64 v[85:86], v[103:104], v[85:86]
	v_add_f64 v[61:62], v[93:94], v[61:62]
	;; [unrolled: 1-line block ×5, first 2 shown]
	v_add_f64 v[87:88], v[12:13], -v[28:29]
	v_add_f64 v[12:13], v[12:13], v[28:29]
	v_add_f64 v[48:49], v[48:49], v[58:59]
	;; [unrolled: 1-line block ×3, first 2 shown]
	v_mul_f64 v[28:29], v[107:108], s[30:31]
	v_fma_f64 v[89:90], v[109:110], s[14:15], -v[91:92]
	v_fma_f64 v[91:92], v[30:31], s[12:13], v[95:96]
	v_add_f64 v[95:96], v[81:82], v[26:27]
	v_add_f64 v[26:27], v[81:82], -v[26:27]
	v_mul_f64 v[81:82], v[87:88], s[16:17]
	v_mul_f64 v[103:104], v[12:13], s[20:21]
	v_add_f64 v[97:98], v[113:114], v[105:106]
	v_fma_f64 v[105:106], v[109:110], s[34:35], v[28:29]
	v_fma_f64 v[107:108], v[30:31], s[36:37], v[34:35]
	v_fma_f64 v[28:29], v[109:110], s[34:35], -v[28:29]
	v_fma_f64 v[30:31], v[30:31], s[30:31], v[34:35]
	v_add_f64 v[34:35], v[89:90], v[40:41]
	v_add_f64 v[40:41], v[91:92], v[42:43]
	v_fma_f64 v[42:43], v[95:96], s[20:21], v[81:82]
	v_fma_f64 v[89:90], v[26:27], s[24:25], v[103:104]
	v_mul_f64 v[91:92], v[12:13], s[22:23]
	v_add_f64 v[38:39], v[105:106], v[38:39]
	v_add_f64 v[14:15], v[28:29], v[14:15]
	;; [unrolled: 1-line block ×3, first 2 shown]
	v_mul_f64 v[28:29], v[87:88], s[36:37]
	v_mul_f64 v[30:31], v[12:13], s[34:35]
	v_add_f64 v[42:43], v[42:43], v[44:45]
	v_add_f64 v[44:45], v[89:90], v[54:55]
	v_fma_f64 v[54:55], v[95:96], s[20:21], -v[81:82]
	v_fma_f64 v[81:82], v[26:27], s[16:17], v[103:104]
	v_mul_f64 v[89:90], v[87:88], s[26:27]
	v_add_f64 v[79:80], v[107:108], v[79:80]
	v_fma_f64 v[103:104], v[95:96], s[34:35], v[28:29]
	v_fma_f64 v[105:106], v[26:27], s[30:31], v[30:31]
	v_fma_f64 v[28:29], v[95:96], s[34:35], -v[28:29]
	v_fma_f64 v[30:31], v[26:27], s[36:37], v[30:31]
	v_add_f64 v[52:53], v[54:55], v[52:53]
	v_add_f64 v[46:47], v[81:82], v[46:47]
	v_fma_f64 v[54:55], v[95:96], s[22:23], v[89:90]
	v_fma_f64 v[81:82], v[26:27], s[28:29], v[91:92]
	v_add_f64 v[99:100], v[103:104], v[99:100]
	v_add_f64 v[101:102], v[105:106], v[101:102]
	;; [unrolled: 1-line block ×4, first 2 shown]
	v_mul_f64 v[30:31], v[87:88], s[4:5]
	v_mul_f64 v[32:33], v[12:13], s[6:7]
	v_add_f64 v[50:51], v[54:55], v[50:51]
	v_add_f64 v[54:55], v[81:82], v[77:78]
	v_fma_f64 v[77:78], v[95:96], s[22:23], -v[89:90]
	v_fma_f64 v[81:82], v[26:27], s[26:27], v[91:92]
	v_mul_f64 v[89:90], v[87:88], s[42:43]
	v_mul_f64 v[91:92], v[12:13], s[40:41]
	v_fma_f64 v[103:104], v[95:96], s[6:7], v[30:31]
	v_fma_f64 v[105:106], v[26:27], s[10:11], v[32:33]
	v_fma_f64 v[30:31], v[95:96], s[6:7], -v[30:31]
	v_fma_f64 v[32:33], v[26:27], s[4:5], v[32:33]
	v_add_f64 v[61:62], v[77:78], v[61:62]
	v_add_f64 v[77:78], v[81:82], v[85:86]
	v_fma_f64 v[81:82], v[95:96], s[40:41], v[89:90]
	v_fma_f64 v[85:86], v[26:27], s[38:39], v[91:92]
	v_mul_f64 v[12:13], v[12:13], s[14:15]
	v_add_f64 v[97:98], v[105:106], v[97:98]
	v_add_f64 v[30:31], v[30:31], v[36:37]
	;; [unrolled: 1-line block ×3, first 2 shown]
	v_mul_f64 v[36:37], v[87:88], s[18:19]
	v_add_f64 v[93:94], v[103:104], v[93:94]
	v_add_f64 v[48:49], v[81:82], v[56:57]
	v_add_f64 v[56:57], v[85:86], v[58:59]
	v_add_f64 v[58:59], v[16:17], -v[22:23]
	v_add_f64 v[16:17], v[16:17], v[22:23]
	v_fma_f64 v[22:23], v[95:96], s[40:41], -v[89:90]
	v_fma_f64 v[81:82], v[26:27], s[42:43], v[91:92]
	v_fma_f64 v[85:86], v[95:96], s[14:15], v[36:37]
	v_fma_f64 v[87:88], v[26:27], s[12:13], v[12:13]
	v_add_f64 v[89:90], v[83:84], v[20:21]
	v_add_f64 v[20:21], v[83:84], -v[20:21]
	v_mul_f64 v[83:84], v[58:59], s[30:31]
	v_mul_f64 v[91:92], v[16:17], s[34:35]
	v_fma_f64 v[36:37], v[95:96], s[14:15], -v[36:37]
	v_fma_f64 v[12:13], v[26:27], s[18:19], v[12:13]
	v_add_f64 v[22:23], v[22:23], v[34:35]
	v_add_f64 v[26:27], v[81:82], v[40:41]
	;; [unrolled: 1-line block ×4, first 2 shown]
	v_fma_f64 v[40:41], v[89:90], s[34:35], v[83:84]
	v_fma_f64 v[79:80], v[20:21], s[36:37], v[91:92]
	v_add_f64 v[14:15], v[36:37], v[14:15]
	v_add_f64 v[12:13], v[12:13], v[24:25]
	v_mul_f64 v[24:25], v[58:59], s[10:11]
	v_mul_f64 v[36:37], v[16:17], s[6:7]
	v_fma_f64 v[81:82], v[89:90], s[34:35], -v[83:84]
	v_fma_f64 v[83:84], v[20:21], s[30:31], v[91:92]
	v_add_f64 v[40:41], v[40:41], v[42:43]
	v_add_f64 v[42:43], v[79:80], v[44:45]
	v_mul_f64 v[44:45], v[58:59], s[12:13]
	v_mul_f64 v[79:80], v[16:17], s[14:15]
	v_fma_f64 v[85:86], v[89:90], s[6:7], v[24:25]
	v_fma_f64 v[87:88], v[20:21], s[4:5], v[36:37]
	v_add_f64 v[52:53], v[81:82], v[52:53]
	v_add_f64 v[46:47], v[83:84], v[46:47]
	v_fma_f64 v[24:25], v[89:90], s[6:7], -v[24:25]
	v_fma_f64 v[36:37], v[20:21], s[10:11], v[36:37]
	v_fma_f64 v[81:82], v[89:90], s[14:15], v[44:45]
	;; [unrolled: 1-line block ×3, first 2 shown]
	v_mul_f64 v[95:96], v[16:17], s[40:41]
	v_mul_f64 v[91:92], v[58:59], s[42:43]
	v_fma_f64 v[44:45], v[89:90], s[14:15], -v[44:45]
	v_add_f64 v[85:86], v[85:86], v[99:100]
	v_add_f64 v[18:19], v[24:25], v[18:19]
	;; [unrolled: 1-line block ×5, first 2 shown]
	v_fma_f64 v[50:51], v[20:21], s[12:13], v[79:80]
	v_fma_f64 v[79:80], v[20:21], s[38:39], v[95:96]
	v_mul_f64 v[81:82], v[58:59], s[26:27]
	v_mul_f64 v[83:84], v[16:17], s[22:23]
	v_fma_f64 v[54:55], v[89:90], s[40:41], v[91:92]
	v_fma_f64 v[91:92], v[89:90], s[40:41], -v[91:92]
	v_fma_f64 v[95:96], v[20:21], s[42:43], v[95:96]
	v_add_f64 v[44:45], v[44:45], v[61:62]
	v_add_f64 v[50:51], v[50:51], v[77:78]
	;; [unrolled: 1-line block ×3, first 2 shown]
	v_fma_f64 v[77:78], v[89:90], s[22:23], v[81:82]
	v_fma_f64 v[79:80], v[20:21], s[28:29], v[83:84]
	v_add_f64 v[54:55], v[54:55], v[93:94]
	v_add_f64 v[91:92], v[91:92], v[30:31]
	;; [unrolled: 1-line block ×3, first 2 shown]
	v_fma_f64 v[30:31], v[89:90], s[22:23], -v[81:82]
	v_fma_f64 v[32:33], v[20:21], s[26:27], v[83:84]
	v_mul_f64 v[58:59], v[58:59], s[16:17]
	v_mul_f64 v[16:17], v[16:17], s[20:21]
	v_add_f64 v[48:49], v[77:78], v[48:49]
	v_add_f64 v[56:57], v[79:80], v[56:57]
	v_add_f64 v[77:78], v[8:9], -v[10:11]
	v_add_f64 v[79:80], v[8:9], v[10:11]
	v_add_f64 v[81:82], v[30:31], v[22:23]
	;; [unrolled: 1-line block ×3, first 2 shown]
	v_fma_f64 v[8:9], v[89:90], s[20:21], v[58:59]
	v_fma_f64 v[10:11], v[20:21], s[24:25], v[16:17]
	v_add_f64 v[95:96], v[4:5], v[6:7]
	v_add_f64 v[97:98], v[4:5], -v[6:7]
	v_mul_f64 v[4:5], v[77:78], s[38:39]
	v_mul_f64 v[6:7], v[79:80], s[40:41]
	v_fma_f64 v[22:23], v[89:90], s[20:21], -v[58:59]
	v_fma_f64 v[16:17], v[20:21], s[16:17], v[16:17]
	v_mul_f64 v[20:21], v[77:78], s[26:27]
	v_mul_f64 v[26:27], v[79:80], s[22:23]
	v_add_f64 v[87:88], v[87:88], v[101:102]
	v_add_f64 v[58:59], v[8:9], v[34:35]
	;; [unrolled: 1-line block ×3, first 2 shown]
	v_fma_f64 v[8:9], v[95:96], s[40:41], v[4:5]
	v_fma_f64 v[10:11], v[97:98], s[42:43], v[6:7]
	v_add_f64 v[99:100], v[22:23], v[14:15]
	v_add_f64 v[101:102], v[16:17], v[12:13]
	v_fma_f64 v[12:13], v[95:96], s[40:41], -v[4:5]
	v_fma_f64 v[14:15], v[97:98], s[38:39], v[6:7]
	v_fma_f64 v[16:17], v[95:96], s[22:23], v[20:21]
	;; [unrolled: 1-line block ×3, first 2 shown]
	v_mul_f64 v[30:31], v[77:78], s[30:31]
	v_mul_f64 v[32:33], v[79:80], s[34:35]
	v_add_f64 v[4:5], v[8:9], v[40:41]
	v_add_f64 v[6:7], v[10:11], v[42:43]
	;; [unrolled: 1-line block ×6, first 2 shown]
	v_fma_f64 v[16:17], v[95:96], s[22:23], -v[20:21]
	v_fma_f64 v[20:21], v[97:98], s[26:27], v[26:27]
	v_fma_f64 v[22:23], v[95:96], s[34:35], v[30:31]
	;; [unrolled: 1-line block ×3, first 2 shown]
	v_mul_f64 v[38:39], v[79:80], s[14:15]
	v_mul_f64 v[34:35], v[77:78], s[18:19]
	v_fma_f64 v[32:33], v[97:98], s[30:31], v[32:33]
	v_fma_f64 v[30:31], v[95:96], s[34:35], -v[30:31]
	v_add_f64 v[16:17], v[16:17], v[18:19]
	v_add_f64 v[18:19], v[20:21], v[24:25]
	;; [unrolled: 1-line block ×4, first 2 shown]
	v_fma_f64 v[36:37], v[97:98], s[12:13], v[38:39]
	v_fma_f64 v[28:29], v[95:96], s[14:15], v[34:35]
	v_add_f64 v[26:27], v[32:33], v[50:51]
	v_fma_f64 v[32:33], v[95:96], s[14:15], -v[34:35]
	v_fma_f64 v[34:35], v[97:98], s[18:19], v[38:39]
	v_mul_f64 v[38:39], v[77:78], s[16:17]
	v_mul_f64 v[40:41], v[79:80], s[20:21]
	v_add_f64 v[24:25], v[30:31], v[44:45]
	v_add_f64 v[30:31], v[36:37], v[61:62]
	v_mul_f64 v[36:37], v[77:78], s[10:11]
	v_mul_f64 v[42:43], v[79:80], s[6:7]
	v_add_f64 v[28:29], v[28:29], v[54:55]
	v_add_f64 v[32:33], v[32:33], v[91:92]
	v_fma_f64 v[44:45], v[95:96], s[20:21], v[38:39]
	v_fma_f64 v[46:47], v[97:98], s[24:25], v[40:41]
	v_fma_f64 v[50:51], v[95:96], s[20:21], -v[38:39]
	v_fma_f64 v[52:53], v[97:98], s[16:17], v[40:41]
	v_fma_f64 v[54:55], v[95:96], s[6:7], v[36:37]
	;; [unrolled: 1-line block ×3, first 2 shown]
	v_fma_f64 v[77:78], v[95:96], s[6:7], -v[36:37]
	v_fma_f64 v[79:80], v[97:98], s[10:11], v[42:43]
	v_add_f64 v[36:37], v[44:45], v[48:49]
	v_add_f64 v[38:39], v[46:47], v[56:57]
	;; [unrolled: 1-line block ×9, first 2 shown]
	ds_write_b128 v73, v[0:3]
	ds_write_b128 v73, v[4:7] offset:2496
	ds_write_b128 v73, v[12:15] offset:4992
	;; [unrolled: 1-line block ×12, first 2 shown]
	s_waitcnt lgkmcnt(0)
	s_barrier
	ds_read_b128 v[4:7], v73
	s_add_u32 s6, s8, 0x7df0
	v_lshlrev_b32_e32 v0, 4, v64
	s_addc_u32 s7, s9, 0
	v_sub_u32_e32 v10, 0, v0
                                        ; implicit-def: $vgpr2_vgpr3
                                        ; implicit-def: $vgpr8_vgpr9
	s_and_saveexec_b64 s[4:5], vcc
	s_xor_b64 s[4:5], exec, s[4:5]
	s_cbranch_execz .LBB0_23
; %bb.22:
	v_mov_b32_e32 v65, 0
	v_lshlrev_b64 v[0:1], 4, v[64:65]
	v_mov_b32_e32 v2, s7
	v_add_co_u32_e32 v0, vcc, s6, v0
	v_addc_co_u32_e32 v1, vcc, v2, v1, vcc
	global_load_dwordx4 v[11:14], v[0:1], off
	ds_read_b128 v[0:3], v10 offset:32448
	s_waitcnt lgkmcnt(0)
	v_add_f64 v[8:9], v[4:5], -v[0:1]
	v_add_f64 v[15:16], v[6:7], v[2:3]
	v_add_f64 v[2:3], v[6:7], -v[2:3]
	v_add_f64 v[0:1], v[4:5], v[0:1]
	v_mul_f64 v[6:7], v[8:9], 0.5
	v_mul_f64 v[4:5], v[15:16], 0.5
	;; [unrolled: 1-line block ×3, first 2 shown]
	s_waitcnt vmcnt(0)
	v_mul_f64 v[8:9], v[6:7], v[13:14]
	v_fma_f64 v[15:16], v[4:5], v[13:14], v[2:3]
	v_fma_f64 v[2:3], v[4:5], v[13:14], -v[2:3]
	v_fma_f64 v[17:18], v[0:1], 0.5, v[8:9]
	v_fma_f64 v[0:1], v[0:1], 0.5, -v[8:9]
	v_fma_f64 v[8:9], -v[11:12], v[6:7], v[15:16]
	v_fma_f64 v[2:3], -v[11:12], v[6:7], v[2:3]
	v_fma_f64 v[13:14], v[4:5], v[11:12], v[17:18]
	v_fma_f64 v[0:1], -v[4:5], v[11:12], v[0:1]
                                        ; implicit-def: $vgpr4_vgpr5
	ds_write_b64 v73, v[13:14]
.LBB0_23:
	s_andn2_saveexec_b64 s[4:5], s[4:5]
	s_cbranch_execz .LBB0_25
; %bb.24:
	s_waitcnt lgkmcnt(0)
	v_add_f64 v[2:3], v[4:5], v[6:7]
	v_mov_b32_e32 v13, 0
	ds_read_b64 v[11:12], v13 offset:16232
	v_add_f64 v[0:1], v[4:5], -v[6:7]
	v_mov_b32_e32 v8, 0
	v_mov_b32_e32 v9, 0
	s_waitcnt lgkmcnt(0)
	v_xor_b32_e32 v12, 0x80000000, v12
	ds_write_b64 v13, v[11:12] offset:16232
	ds_write_b64 v73, v[2:3]
	v_mov_b32_e32 v2, v8
	v_mov_b32_e32 v3, v9
.LBB0_25:
	s_or_b64 exec, exec, s[4:5]
	v_mov_b32_e32 v69, 0
	s_waitcnt lgkmcnt(0)
	v_lshlrev_b64 v[4:5], 4, v[68:69]
	v_mov_b32_e32 v6, s7
	v_add_co_u32_e32 v4, vcc, s6, v4
	v_addc_co_u32_e32 v5, vcc, v6, v5, vcc
	global_load_dwordx4 v[4:7], v[4:5], off
	v_mov_b32_e32 v72, v69
	v_lshlrev_b64 v[11:12], 4, v[71:72]
	v_mov_b32_e32 v13, s7
	v_add_co_u32_e32 v11, vcc, s6, v11
	v_addc_co_u32_e32 v12, vcc, v13, v12, vcc
	global_load_dwordx4 v[11:14], v[11:12], off
	ds_write_b64 v73, v[8:9] offset:8
	ds_write_b128 v10, v[0:3] offset:32448
	ds_read_b128 v[0:3], v76
	ds_read_b128 v[15:18], v10 offset:29952
	v_mov_b32_e32 v71, v69
	v_mov_b32_e32 v27, s7
	;; [unrolled: 1-line block ×3, first 2 shown]
	v_add_u32_e32 v68, 0x30c, v64
	s_waitcnt lgkmcnt(0)
	v_add_f64 v[8:9], v[0:1], -v[15:16]
	v_add_f64 v[19:20], v[2:3], v[17:18]
	v_add_f64 v[2:3], v[2:3], -v[17:18]
	v_add_f64 v[0:1], v[0:1], v[15:16]
	v_lshlrev_b64 v[15:16], 4, v[70:71]
	s_movk_i32 s4, 0x4e
	v_mul_f64 v[17:18], v[8:9], 0.5
	v_mul_f64 v[19:20], v[19:20], 0.5
	;; [unrolled: 1-line block ×3, first 2 shown]
	s_waitcnt vmcnt(1)
	v_mul_f64 v[8:9], v[17:18], v[6:7]
	v_fma_f64 v[21:22], v[19:20], v[6:7], v[2:3]
	v_fma_f64 v[6:7], v[19:20], v[6:7], -v[2:3]
	v_fma_f64 v[23:24], v[0:1], 0.5, v[8:9]
	v_fma_f64 v[25:26], v[0:1], 0.5, -v[8:9]
	v_add_co_u32_e32 v0, vcc, s6, v15
	v_addc_co_u32_e32 v1, vcc, v27, v16, vcc
	global_load_dwordx4 v[0:3], v[0:1], off
	v_fma_f64 v[8:9], -v[4:5], v[17:18], v[21:22]
	v_fma_f64 v[17:18], -v[4:5], v[17:18], v[6:7]
	v_fma_f64 v[6:7], v[19:20], v[4:5], v[23:24]
	v_fma_f64 v[15:16], -v[19:20], v[4:5], v[25:26]
	ds_write_b128 v76, v[6:9]
	ds_write_b128 v10, v[15:18] offset:29952
	ds_read_b128 v[4:7], v75
	ds_read_b128 v[15:18], v10 offset:27456
	s_waitcnt lgkmcnt(0)
	v_add_f64 v[8:9], v[4:5], -v[15:16]
	v_add_f64 v[19:20], v[6:7], v[17:18]
	v_add_f64 v[6:7], v[6:7], -v[17:18]
	v_add_f64 v[4:5], v[4:5], v[15:16]
	v_mul_f64 v[8:9], v[8:9], 0.5
	v_mul_f64 v[17:18], v[19:20], 0.5
	;; [unrolled: 1-line block ×3, first 2 shown]
	v_lshlrev_b64 v[19:20], 4, v[60:61]
	s_waitcnt vmcnt(1)
	v_mul_f64 v[15:16], v[8:9], v[13:14]
	v_fma_f64 v[21:22], v[17:18], v[13:14], v[6:7]
	v_fma_f64 v[13:14], v[17:18], v[13:14], -v[6:7]
	v_fma_f64 v[23:24], v[4:5], 0.5, v[15:16]
	v_fma_f64 v[25:26], v[4:5], 0.5, -v[15:16]
	v_add_co_u32_e32 v4, vcc, s6, v19
	v_addc_co_u32_e32 v5, vcc, v27, v20, vcc
	global_load_dwordx4 v[4:7], v[4:5], off
	v_fma_f64 v[15:16], -v[11:12], v[8:9], v[21:22]
	v_fma_f64 v[19:20], -v[11:12], v[8:9], v[13:14]
	v_fma_f64 v[13:14], v[17:18], v[11:12], v[23:24]
	v_fma_f64 v[17:18], -v[17:18], v[11:12], v[25:26]
	ds_write_b128 v75, v[13:16]
	ds_write_b128 v10, v[17:20] offset:27456
	ds_read_b128 v[11:14], v74
	ds_read_b128 v[15:18], v10 offset:24960
	s_waitcnt lgkmcnt(0)
	v_add_f64 v[8:9], v[11:12], -v[15:16]
	v_add_f64 v[19:20], v[13:14], v[17:18]
	v_add_f64 v[13:14], v[13:14], -v[17:18]
	v_add_f64 v[11:12], v[11:12], v[15:16]
	v_lshlrev_b64 v[17:18], 4, v[68:69]
	v_mul_f64 v[8:9], v[8:9], 0.5
	v_mul_f64 v[19:20], v[19:20], 0.5
	;; [unrolled: 1-line block ×3, first 2 shown]
	s_waitcnt vmcnt(1)
	v_mul_f64 v[15:16], v[8:9], v[2:3]
	v_fma_f64 v[21:22], v[19:20], v[2:3], v[13:14]
	v_fma_f64 v[2:3], v[19:20], v[2:3], -v[13:14]
	v_fma_f64 v[23:24], v[11:12], 0.5, v[15:16]
	v_fma_f64 v[25:26], v[11:12], 0.5, -v[15:16]
	v_add_co_u32_e32 v11, vcc, s6, v17
	v_addc_co_u32_e32 v12, vcc, v27, v18, vcc
	global_load_dwordx4 v[11:14], v[11:12], off
	v_fma_f64 v[17:18], -v[0:1], v[8:9], v[21:22]
	v_fma_f64 v[15:16], v[19:20], v[0:1], v[23:24]
	v_fma_f64 v[2:3], -v[0:1], v[8:9], v[2:3]
	v_fma_f64 v[0:1], -v[19:20], v[0:1], v[25:26]
	v_cmp_gt_u32_e32 vcc, s4, v64
	ds_write_b128 v74, v[15:18]
	ds_write_b128 v10, v[0:3] offset:24960
	ds_read_b128 v[0:3], v73 offset:9984
	ds_read_b128 v[15:18], v10 offset:22464
	s_waitcnt lgkmcnt(0)
	v_add_f64 v[8:9], v[0:1], -v[15:16]
	v_add_f64 v[19:20], v[2:3], v[17:18]
	v_add_f64 v[2:3], v[2:3], -v[17:18]
	v_add_f64 v[0:1], v[0:1], v[15:16]
	v_mul_f64 v[8:9], v[8:9], 0.5
	v_mul_f64 v[17:18], v[19:20], 0.5
	;; [unrolled: 1-line block ×3, first 2 shown]
	s_waitcnt vmcnt(1)
	v_mul_f64 v[15:16], v[8:9], v[6:7]
	v_fma_f64 v[19:20], v[17:18], v[6:7], v[2:3]
	v_fma_f64 v[6:7], v[17:18], v[6:7], -v[2:3]
	v_fma_f64 v[21:22], v[0:1], 0.5, v[15:16]
	v_fma_f64 v[15:16], v[0:1], 0.5, -v[15:16]
	v_fma_f64 v[2:3], -v[4:5], v[8:9], v[19:20]
	v_fma_f64 v[6:7], -v[4:5], v[8:9], v[6:7]
	v_fma_f64 v[0:1], v[17:18], v[4:5], v[21:22]
	v_fma_f64 v[4:5], -v[17:18], v[4:5], v[15:16]
	ds_write_b128 v73, v[0:3] offset:9984
	ds_write_b128 v10, v[4:7] offset:22464
	ds_read_b128 v[0:3], v73 offset:12480
	ds_read_b128 v[4:7], v10 offset:19968
	s_waitcnt lgkmcnt(0)
	v_add_f64 v[8:9], v[0:1], -v[4:5]
	v_add_f64 v[15:16], v[2:3], v[6:7]
	v_add_f64 v[2:3], v[2:3], -v[6:7]
	v_add_f64 v[0:1], v[0:1], v[4:5]
	v_mul_f64 v[6:7], v[8:9], 0.5
	v_mul_f64 v[8:9], v[15:16], 0.5
	;; [unrolled: 1-line block ×3, first 2 shown]
	s_waitcnt vmcnt(0)
	v_mul_f64 v[4:5], v[6:7], v[13:14]
	v_fma_f64 v[15:16], v[8:9], v[13:14], v[2:3]
	v_fma_f64 v[13:14], v[8:9], v[13:14], -v[2:3]
	v_fma_f64 v[17:18], v[0:1], 0.5, v[4:5]
	v_fma_f64 v[4:5], v[0:1], 0.5, -v[4:5]
	v_fma_f64 v[2:3], -v[11:12], v[6:7], v[15:16]
	v_fma_f64 v[6:7], -v[11:12], v[6:7], v[13:14]
	v_fma_f64 v[0:1], v[8:9], v[11:12], v[17:18]
	v_fma_f64 v[4:5], -v[8:9], v[11:12], v[4:5]
	ds_write_b128 v73, v[0:3] offset:12480
	ds_write_b128 v10, v[4:7] offset:19968
	s_and_saveexec_b64 s[4:5], vcc
	s_cbranch_execz .LBB0_27
; %bb.26:
	v_add_u32_e32 v68, 0x3a8, v64
	v_lshlrev_b64 v[0:1], 4, v[68:69]
	v_mov_b32_e32 v2, s7
	v_add_co_u32_e32 v0, vcc, s6, v0
	v_addc_co_u32_e32 v1, vcc, v2, v1, vcc
	global_load_dwordx4 v[0:3], v[0:1], off
	ds_read_b128 v[4:7], v73 offset:14976
	ds_read_b128 v[11:14], v10 offset:17472
	s_waitcnt lgkmcnt(0)
	v_add_f64 v[8:9], v[4:5], -v[11:12]
	v_add_f64 v[15:16], v[6:7], v[13:14]
	v_add_f64 v[6:7], v[6:7], -v[13:14]
	v_add_f64 v[4:5], v[4:5], v[11:12]
	v_mul_f64 v[8:9], v[8:9], 0.5
	v_mul_f64 v[13:14], v[15:16], 0.5
	;; [unrolled: 1-line block ×3, first 2 shown]
	s_waitcnt vmcnt(0)
	v_mul_f64 v[11:12], v[8:9], v[2:3]
	v_fma_f64 v[15:16], v[13:14], v[2:3], v[6:7]
	v_fma_f64 v[2:3], v[13:14], v[2:3], -v[6:7]
	v_fma_f64 v[6:7], v[4:5], 0.5, v[11:12]
	v_fma_f64 v[11:12], v[4:5], 0.5, -v[11:12]
	v_fma_f64 v[4:5], -v[0:1], v[8:9], v[15:16]
	v_fma_f64 v[8:9], -v[0:1], v[8:9], v[2:3]
	v_fma_f64 v[2:3], v[13:14], v[0:1], v[6:7]
	v_fma_f64 v[6:7], -v[13:14], v[0:1], v[11:12]
	ds_write_b128 v73, v[2:5] offset:14976
	ds_write_b128 v10, v[6:9] offset:17472
.LBB0_27:
	s_or_b64 exec, exec, s[4:5]
	s_waitcnt lgkmcnt(0)
	s_barrier
	s_and_saveexec_b64 s[4:5], s[0:1]
	s_cbranch_execz .LBB0_30
; %bb.28:
	v_mov_b32_e32 v65, 0
	ds_read_b128 v[2:5], v73
	ds_read_b128 v[6:9], v73 offset:2496
	v_mov_b32_e32 v0, s3
	v_add_co_u32_e32 v1, vcc, s2, v66
	v_lshlrev_b64 v[10:11], 4, v[64:65]
	v_addc_co_u32_e32 v0, vcc, v0, v67, vcc
	v_add_co_u32_e32 v10, vcc, v1, v10
	v_addc_co_u32_e32 v11, vcc, v0, v11, vcc
	s_waitcnt lgkmcnt(1)
	global_store_dwordx4 v[10:11], v[2:5], off
	s_waitcnt lgkmcnt(0)
	global_store_dwordx4 v[10:11], v[6:9], off offset:2496
	ds_read_b128 v[2:5], v73 offset:4992
	ds_read_b128 v[6:9], v73 offset:7488
	v_add_co_u32_e32 v12, vcc, 0x1000, v10
	v_addc_co_u32_e32 v13, vcc, 0, v11, vcc
	s_waitcnt lgkmcnt(1)
	global_store_dwordx4 v[12:13], v[2:5], off offset:896
	s_waitcnt lgkmcnt(0)
	global_store_dwordx4 v[12:13], v[6:9], off offset:3392
	ds_read_b128 v[2:5], v73 offset:9984
	ds_read_b128 v[6:9], v73 offset:12480
	v_add_co_u32_e32 v12, vcc, 0x2000, v10
	v_addc_co_u32_e32 v13, vcc, 0, v11, vcc
	s_waitcnt lgkmcnt(1)
	global_store_dwordx4 v[12:13], v[2:5], off offset:1792
	v_add_co_u32_e32 v12, vcc, 0x3000, v10
	ds_read_b128 v[2:5], v73 offset:14976
	v_addc_co_u32_e32 v13, vcc, 0, v11, vcc
	s_waitcnt lgkmcnt(1)
	global_store_dwordx4 v[12:13], v[6:9], off offset:192
	ds_read_b128 v[6:9], v73 offset:17472
	s_waitcnt lgkmcnt(1)
	global_store_dwordx4 v[12:13], v[2:5], off offset:2688
	v_add_co_u32_e32 v12, vcc, 0x4000, v10
	ds_read_b128 v[2:5], v73 offset:19968
	v_addc_co_u32_e32 v13, vcc, 0, v11, vcc
	s_waitcnt lgkmcnt(1)
	global_store_dwordx4 v[12:13], v[6:9], off offset:1088
	ds_read_b128 v[6:9], v73 offset:22464
	s_waitcnt lgkmcnt(1)
	global_store_dwordx4 v[12:13], v[2:5], off offset:3584
	s_movk_i32 s0, 0x9b
	v_add_co_u32_e32 v2, vcc, 0x5000, v10
	v_addc_co_u32_e32 v3, vcc, 0, v11, vcc
	s_waitcnt lgkmcnt(0)
	global_store_dwordx4 v[2:3], v[6:9], off offset:1984
	ds_read_b128 v[2:5], v73 offset:24960
	ds_read_b128 v[6:9], v73 offset:27456
	v_add_co_u32_e32 v12, vcc, 0x6000, v10
	v_addc_co_u32_e32 v13, vcc, 0, v11, vcc
	s_waitcnt lgkmcnt(1)
	global_store_dwordx4 v[12:13], v[2:5], off offset:384
	s_waitcnt lgkmcnt(0)
	global_store_dwordx4 v[12:13], v[6:9], off offset:2880
	ds_read_b128 v[2:5], v73 offset:29952
	v_add_co_u32_e32 v6, vcc, 0x7000, v10
	v_addc_co_u32_e32 v7, vcc, 0, v11, vcc
	v_cmp_eq_u32_e32 vcc, s0, v64
	s_waitcnt lgkmcnt(0)
	global_store_dwordx4 v[6:7], v[2:5], off offset:1280
	s_and_b64 exec, exec, vcc
	s_cbranch_execz .LBB0_30
; %bb.29:
	ds_read_b128 v[2:5], v65 offset:32448
	v_add_co_u32_e32 v6, vcc, 0x7000, v1
	v_addc_co_u32_e32 v7, vcc, 0, v0, vcc
	s_waitcnt lgkmcnt(0)
	global_store_dwordx4 v[6:7], v[2:5], off offset:3776
.LBB0_30:
	s_endpgm
	.section	.rodata,"a",@progbits
	.p2align	6, 0x0
	.amdhsa_kernel fft_rtc_back_len2028_factors_13_4_3_13_wgs_156_tpt_156_dp_ip_CI_unitstride_sbrr_R2C_dirReg
		.amdhsa_group_segment_fixed_size 0
		.amdhsa_private_segment_fixed_size 0
		.amdhsa_kernarg_size 88
		.amdhsa_user_sgpr_count 6
		.amdhsa_user_sgpr_private_segment_buffer 1
		.amdhsa_user_sgpr_dispatch_ptr 0
		.amdhsa_user_sgpr_queue_ptr 0
		.amdhsa_user_sgpr_kernarg_segment_ptr 1
		.amdhsa_user_sgpr_dispatch_id 0
		.amdhsa_user_sgpr_flat_scratch_init 0
		.amdhsa_user_sgpr_private_segment_size 0
		.amdhsa_uses_dynamic_stack 0
		.amdhsa_system_sgpr_private_segment_wavefront_offset 0
		.amdhsa_system_sgpr_workgroup_id_x 1
		.amdhsa_system_sgpr_workgroup_id_y 0
		.amdhsa_system_sgpr_workgroup_id_z 0
		.amdhsa_system_sgpr_workgroup_info 0
		.amdhsa_system_vgpr_workitem_id 0
		.amdhsa_next_free_vgpr 127
		.amdhsa_next_free_sgpr 44
		.amdhsa_reserve_vcc 1
		.amdhsa_reserve_flat_scratch 0
		.amdhsa_float_round_mode_32 0
		.amdhsa_float_round_mode_16_64 0
		.amdhsa_float_denorm_mode_32 3
		.amdhsa_float_denorm_mode_16_64 3
		.amdhsa_dx10_clamp 1
		.amdhsa_ieee_mode 1
		.amdhsa_fp16_overflow 0
		.amdhsa_exception_fp_ieee_invalid_op 0
		.amdhsa_exception_fp_denorm_src 0
		.amdhsa_exception_fp_ieee_div_zero 0
		.amdhsa_exception_fp_ieee_overflow 0
		.amdhsa_exception_fp_ieee_underflow 0
		.amdhsa_exception_fp_ieee_inexact 0
		.amdhsa_exception_int_div_zero 0
	.end_amdhsa_kernel
	.text
.Lfunc_end0:
	.size	fft_rtc_back_len2028_factors_13_4_3_13_wgs_156_tpt_156_dp_ip_CI_unitstride_sbrr_R2C_dirReg, .Lfunc_end0-fft_rtc_back_len2028_factors_13_4_3_13_wgs_156_tpt_156_dp_ip_CI_unitstride_sbrr_R2C_dirReg
                                        ; -- End function
	.section	.AMDGPU.csdata,"",@progbits
; Kernel info:
; codeLenInByte = 14652
; NumSgprs: 48
; NumVgprs: 127
; ScratchSize: 0
; MemoryBound: 0
; FloatMode: 240
; IeeeMode: 1
; LDSByteSize: 0 bytes/workgroup (compile time only)
; SGPRBlocks: 5
; VGPRBlocks: 31
; NumSGPRsForWavesPerEU: 48
; NumVGPRsForWavesPerEU: 127
; Occupancy: 2
; WaveLimiterHint : 1
; COMPUTE_PGM_RSRC2:SCRATCH_EN: 0
; COMPUTE_PGM_RSRC2:USER_SGPR: 6
; COMPUTE_PGM_RSRC2:TRAP_HANDLER: 0
; COMPUTE_PGM_RSRC2:TGID_X_EN: 1
; COMPUTE_PGM_RSRC2:TGID_Y_EN: 0
; COMPUTE_PGM_RSRC2:TGID_Z_EN: 0
; COMPUTE_PGM_RSRC2:TIDIG_COMP_CNT: 0
	.type	__hip_cuid_f4ee3bf33c846e9d,@object ; @__hip_cuid_f4ee3bf33c846e9d
	.section	.bss,"aw",@nobits
	.globl	__hip_cuid_f4ee3bf33c846e9d
__hip_cuid_f4ee3bf33c846e9d:
	.byte	0                               ; 0x0
	.size	__hip_cuid_f4ee3bf33c846e9d, 1

	.ident	"AMD clang version 19.0.0git (https://github.com/RadeonOpenCompute/llvm-project roc-6.4.0 25133 c7fe45cf4b819c5991fe208aaa96edf142730f1d)"
	.section	".note.GNU-stack","",@progbits
	.addrsig
	.addrsig_sym __hip_cuid_f4ee3bf33c846e9d
	.amdgpu_metadata
---
amdhsa.kernels:
  - .args:
      - .actual_access:  read_only
        .address_space:  global
        .offset:         0
        .size:           8
        .value_kind:     global_buffer
      - .offset:         8
        .size:           8
        .value_kind:     by_value
      - .actual_access:  read_only
        .address_space:  global
        .offset:         16
        .size:           8
        .value_kind:     global_buffer
      - .actual_access:  read_only
        .address_space:  global
        .offset:         24
        .size:           8
        .value_kind:     global_buffer
      - .offset:         32
        .size:           8
        .value_kind:     by_value
      - .actual_access:  read_only
        .address_space:  global
        .offset:         40
        .size:           8
        .value_kind:     global_buffer
      - .actual_access:  read_only
        .address_space:  global
        .offset:         48
        .size:           8
        .value_kind:     global_buffer
      - .offset:         56
        .size:           4
        .value_kind:     by_value
      - .actual_access:  read_only
        .address_space:  global
        .offset:         64
        .size:           8
        .value_kind:     global_buffer
      - .actual_access:  read_only
        .address_space:  global
        .offset:         72
        .size:           8
        .value_kind:     global_buffer
      - .address_space:  global
        .offset:         80
        .size:           8
        .value_kind:     global_buffer
    .group_segment_fixed_size: 0
    .kernarg_segment_align: 8
    .kernarg_segment_size: 88
    .language:       OpenCL C
    .language_version:
      - 2
      - 0
    .max_flat_workgroup_size: 156
    .name:           fft_rtc_back_len2028_factors_13_4_3_13_wgs_156_tpt_156_dp_ip_CI_unitstride_sbrr_R2C_dirReg
    .private_segment_fixed_size: 0
    .sgpr_count:     48
    .sgpr_spill_count: 0
    .symbol:         fft_rtc_back_len2028_factors_13_4_3_13_wgs_156_tpt_156_dp_ip_CI_unitstride_sbrr_R2C_dirReg.kd
    .uniform_work_group_size: 1
    .uses_dynamic_stack: false
    .vgpr_count:     127
    .vgpr_spill_count: 0
    .wavefront_size: 64
amdhsa.target:   amdgcn-amd-amdhsa--gfx906
amdhsa.version:
  - 1
  - 2
...

	.end_amdgpu_metadata
